;; amdgpu-corpus repo=ROCm/rocFFT kind=compiled arch=gfx906 opt=O3
	.text
	.amdgcn_target "amdgcn-amd-amdhsa--gfx906"
	.amdhsa_code_object_version 6
	.protected	fft_rtc_fwd_len1287_factors_3_13_3_11_wgs_117_tpt_117_half_op_CI_CI_sbrr_dirReg ; -- Begin function fft_rtc_fwd_len1287_factors_3_13_3_11_wgs_117_tpt_117_half_op_CI_CI_sbrr_dirReg
	.globl	fft_rtc_fwd_len1287_factors_3_13_3_11_wgs_117_tpt_117_half_op_CI_CI_sbrr_dirReg
	.p2align	8
	.type	fft_rtc_fwd_len1287_factors_3_13_3_11_wgs_117_tpt_117_half_op_CI_CI_sbrr_dirReg,@function
fft_rtc_fwd_len1287_factors_3_13_3_11_wgs_117_tpt_117_half_op_CI_CI_sbrr_dirReg: ; @fft_rtc_fwd_len1287_factors_3_13_3_11_wgs_117_tpt_117_half_op_CI_CI_sbrr_dirReg
; %bb.0:
	s_load_dwordx4 s[16:19], s[4:5], 0x18
	s_load_dwordx4 s[12:15], s[4:5], 0x0
	;; [unrolled: 1-line block ×3, first 2 shown]
	v_mul_u32_u24_e32 v1, 0x231, v0
	v_mov_b32_e32 v7, 0
	s_waitcnt lgkmcnt(0)
	s_load_dwordx2 s[2:3], s[16:17], 0x0
	s_load_dwordx2 s[20:21], s[18:19], 0x0
	v_cmp_lt_u64_e64 s[0:1], s[14:15], 2
	v_mov_b32_e32 v5, 0
	v_add_u32_sdwa v9, s6, v1 dst_sel:DWORD dst_unused:UNUSED_PAD src0_sel:DWORD src1_sel:WORD_1
	v_mov_b32_e32 v10, v7
	s_and_b64 vcc, exec, s[0:1]
	v_mov_b32_e32 v6, 0
	s_cbranch_vccnz .LBB0_8
; %bb.1:
	s_load_dwordx2 s[0:1], s[4:5], 0x10
	s_add_u32 s6, s18, 8
	s_addc_u32 s7, s19, 0
	s_add_u32 s22, s16, 8
	s_addc_u32 s23, s17, 0
	v_mov_b32_e32 v5, 0
	s_waitcnt lgkmcnt(0)
	s_add_u32 s24, s0, 8
	v_mov_b32_e32 v6, 0
	v_mov_b32_e32 v1, v5
	s_addc_u32 s25, s1, 0
	s_mov_b64 s[26:27], 1
	v_mov_b32_e32 v2, v6
.LBB0_2:                                ; =>This Inner Loop Header: Depth=1
	s_load_dwordx2 s[28:29], s[24:25], 0x0
                                        ; implicit-def: $vgpr3_vgpr4
	s_waitcnt lgkmcnt(0)
	v_or_b32_e32 v8, s29, v10
	v_cmp_ne_u64_e32 vcc, 0, v[7:8]
	s_and_saveexec_b64 s[0:1], vcc
	s_xor_b64 s[30:31], exec, s[0:1]
	s_cbranch_execz .LBB0_4
; %bb.3:                                ;   in Loop: Header=BB0_2 Depth=1
	v_cvt_f32_u32_e32 v3, s28
	v_cvt_f32_u32_e32 v4, s29
	s_sub_u32 s0, 0, s28
	s_subb_u32 s1, 0, s29
	v_mac_f32_e32 v3, 0x4f800000, v4
	v_rcp_f32_e32 v3, v3
	v_mul_f32_e32 v3, 0x5f7ffffc, v3
	v_mul_f32_e32 v4, 0x2f800000, v3
	v_trunc_f32_e32 v4, v4
	v_mac_f32_e32 v3, 0xcf800000, v4
	v_cvt_u32_f32_e32 v4, v4
	v_cvt_u32_f32_e32 v3, v3
	v_mul_lo_u32 v8, s0, v4
	v_mul_hi_u32 v11, s0, v3
	v_mul_lo_u32 v13, s1, v3
	v_mul_lo_u32 v12, s0, v3
	v_add_u32_e32 v8, v11, v8
	v_add_u32_e32 v8, v8, v13
	v_mul_hi_u32 v11, v3, v12
	v_mul_lo_u32 v13, v3, v8
	v_mul_hi_u32 v15, v3, v8
	v_mul_hi_u32 v14, v4, v12
	v_mul_lo_u32 v12, v4, v12
	v_mul_hi_u32 v16, v4, v8
	v_add_co_u32_e32 v11, vcc, v11, v13
	v_addc_co_u32_e32 v13, vcc, 0, v15, vcc
	v_mul_lo_u32 v8, v4, v8
	v_add_co_u32_e32 v11, vcc, v11, v12
	v_addc_co_u32_e32 v11, vcc, v13, v14, vcc
	v_addc_co_u32_e32 v12, vcc, 0, v16, vcc
	v_add_co_u32_e32 v8, vcc, v11, v8
	v_addc_co_u32_e32 v11, vcc, 0, v12, vcc
	v_add_co_u32_e32 v3, vcc, v3, v8
	v_addc_co_u32_e32 v4, vcc, v4, v11, vcc
	v_mul_lo_u32 v8, s0, v4
	v_mul_hi_u32 v11, s0, v3
	v_mul_lo_u32 v12, s1, v3
	v_mul_lo_u32 v13, s0, v3
	v_add_u32_e32 v8, v11, v8
	v_add_u32_e32 v8, v8, v12
	v_mul_lo_u32 v14, v3, v8
	v_mul_hi_u32 v15, v3, v13
	v_mul_hi_u32 v16, v3, v8
	;; [unrolled: 1-line block ×3, first 2 shown]
	v_mul_lo_u32 v13, v4, v13
	v_mul_hi_u32 v11, v4, v8
	v_add_co_u32_e32 v14, vcc, v15, v14
	v_addc_co_u32_e32 v15, vcc, 0, v16, vcc
	v_mul_lo_u32 v8, v4, v8
	v_add_co_u32_e32 v13, vcc, v14, v13
	v_addc_co_u32_e32 v12, vcc, v15, v12, vcc
	v_addc_co_u32_e32 v11, vcc, 0, v11, vcc
	v_add_co_u32_e32 v8, vcc, v12, v8
	v_addc_co_u32_e32 v11, vcc, 0, v11, vcc
	v_add_co_u32_e32 v8, vcc, v3, v8
	v_addc_co_u32_e32 v11, vcc, v4, v11, vcc
	v_mad_u64_u32 v[3:4], s[0:1], v9, v11, 0
	v_mul_hi_u32 v12, v9, v8
	v_add_co_u32_e32 v13, vcc, v12, v3
	v_addc_co_u32_e32 v14, vcc, 0, v4, vcc
	v_mad_u64_u32 v[3:4], s[0:1], v10, v8, 0
	v_mad_u64_u32 v[11:12], s[0:1], v10, v11, 0
	v_add_co_u32_e32 v3, vcc, v13, v3
	v_addc_co_u32_e32 v3, vcc, v14, v4, vcc
	v_addc_co_u32_e32 v4, vcc, 0, v12, vcc
	v_add_co_u32_e32 v8, vcc, v3, v11
	v_addc_co_u32_e32 v11, vcc, 0, v4, vcc
	v_mul_lo_u32 v12, s29, v8
	v_mul_lo_u32 v13, s28, v11
	v_mad_u64_u32 v[3:4], s[0:1], s28, v8, 0
	v_add3_u32 v4, v4, v13, v12
	v_sub_u32_e32 v12, v10, v4
	v_mov_b32_e32 v13, s29
	v_sub_co_u32_e32 v3, vcc, v9, v3
	v_subb_co_u32_e64 v12, s[0:1], v12, v13, vcc
	v_subrev_co_u32_e64 v13, s[0:1], s28, v3
	v_subbrev_co_u32_e64 v12, s[0:1], 0, v12, s[0:1]
	v_cmp_le_u32_e64 s[0:1], s29, v12
	v_cndmask_b32_e64 v14, 0, -1, s[0:1]
	v_cmp_le_u32_e64 s[0:1], s28, v13
	v_cndmask_b32_e64 v13, 0, -1, s[0:1]
	v_cmp_eq_u32_e64 s[0:1], s29, v12
	v_cndmask_b32_e64 v12, v14, v13, s[0:1]
	v_add_co_u32_e64 v13, s[0:1], 2, v8
	v_addc_co_u32_e64 v14, s[0:1], 0, v11, s[0:1]
	v_add_co_u32_e64 v15, s[0:1], 1, v8
	v_addc_co_u32_e64 v16, s[0:1], 0, v11, s[0:1]
	v_subb_co_u32_e32 v4, vcc, v10, v4, vcc
	v_cmp_ne_u32_e64 s[0:1], 0, v12
	v_cmp_le_u32_e32 vcc, s29, v4
	v_cndmask_b32_e64 v12, v16, v14, s[0:1]
	v_cndmask_b32_e64 v14, 0, -1, vcc
	v_cmp_le_u32_e32 vcc, s28, v3
	v_cndmask_b32_e64 v3, 0, -1, vcc
	v_cmp_eq_u32_e32 vcc, s29, v4
	v_cndmask_b32_e32 v3, v14, v3, vcc
	v_cmp_ne_u32_e32 vcc, 0, v3
	v_cndmask_b32_e64 v3, v15, v13, s[0:1]
	v_cndmask_b32_e32 v4, v11, v12, vcc
	v_cndmask_b32_e32 v3, v8, v3, vcc
.LBB0_4:                                ;   in Loop: Header=BB0_2 Depth=1
	s_andn2_saveexec_b64 s[0:1], s[30:31]
	s_cbranch_execz .LBB0_6
; %bb.5:                                ;   in Loop: Header=BB0_2 Depth=1
	v_cvt_f32_u32_e32 v3, s28
	s_sub_i32 s30, 0, s28
	v_rcp_iflag_f32_e32 v3, v3
	v_mul_f32_e32 v3, 0x4f7ffffe, v3
	v_cvt_u32_f32_e32 v3, v3
	v_mul_lo_u32 v4, s30, v3
	v_mul_hi_u32 v4, v3, v4
	v_add_u32_e32 v3, v3, v4
	v_mul_hi_u32 v3, v9, v3
	v_mul_lo_u32 v4, v3, s28
	v_add_u32_e32 v8, 1, v3
	v_sub_u32_e32 v4, v9, v4
	v_subrev_u32_e32 v11, s28, v4
	v_cmp_le_u32_e32 vcc, s28, v4
	v_cndmask_b32_e32 v4, v4, v11, vcc
	v_cndmask_b32_e32 v3, v3, v8, vcc
	v_add_u32_e32 v8, 1, v3
	v_cmp_le_u32_e32 vcc, s28, v4
	v_cndmask_b32_e32 v3, v3, v8, vcc
	v_mov_b32_e32 v4, v7
.LBB0_6:                                ;   in Loop: Header=BB0_2 Depth=1
	s_or_b64 exec, exec, s[0:1]
	v_mul_lo_u32 v8, v4, s28
	v_mul_lo_u32 v13, v3, s29
	v_mad_u64_u32 v[11:12], s[0:1], v3, s28, 0
	s_load_dwordx2 s[0:1], s[22:23], 0x0
	s_load_dwordx2 s[28:29], s[6:7], 0x0
	v_add3_u32 v8, v12, v13, v8
	v_sub_co_u32_e32 v9, vcc, v9, v11
	v_subb_co_u32_e32 v8, vcc, v10, v8, vcc
	s_waitcnt lgkmcnt(0)
	v_mul_lo_u32 v10, s0, v8
	v_mul_lo_u32 v11, s1, v9
	v_mad_u64_u32 v[5:6], s[0:1], s0, v9, v[5:6]
	v_mul_lo_u32 v8, s28, v8
	v_mul_lo_u32 v12, s29, v9
	v_mad_u64_u32 v[1:2], s[0:1], s28, v9, v[1:2]
	s_add_u32 s26, s26, 1
	s_addc_u32 s27, s27, 0
	s_add_u32 s6, s6, 8
	v_add3_u32 v2, v12, v2, v8
	s_addc_u32 s7, s7, 0
	v_mov_b32_e32 v8, s14
	s_add_u32 s22, s22, 8
	v_mov_b32_e32 v9, s15
	s_addc_u32 s23, s23, 0
	v_cmp_ge_u64_e32 vcc, s[26:27], v[8:9]
	s_add_u32 s24, s24, 8
	v_add3_u32 v6, v11, v6, v10
	s_addc_u32 s25, s25, 0
	s_cbranch_vccnz .LBB0_9
; %bb.7:                                ;   in Loop: Header=BB0_2 Depth=1
	v_mov_b32_e32 v10, v4
	v_mov_b32_e32 v9, v3
	s_branch .LBB0_2
.LBB0_8:
	v_mov_b32_e32 v1, v5
	v_mov_b32_e32 v3, v9
	;; [unrolled: 1-line block ×4, first 2 shown]
.LBB0_9:
	s_load_dwordx2 s[0:1], s[4:5], 0x28
	s_lshl_b64 s[14:15], s[14:15], 3
	s_add_u32 s4, s18, s14
	s_addc_u32 s5, s19, s15
                                        ; implicit-def: $sgpr18
                                        ; implicit-def: $vgpr18
                                        ; implicit-def: $vgpr19
                                        ; implicit-def: $vgpr20
	s_waitcnt lgkmcnt(0)
	v_cmp_gt_u64_e32 vcc, s[0:1], v[3:4]
	v_cmp_le_u64_e64 s[0:1], s[0:1], v[3:4]
	s_and_saveexec_b64 s[6:7], s[0:1]
	s_xor_b64 s[0:1], exec, s[6:7]
; %bb.10:
	s_mov_b32 s6, 0x2302303
	v_mul_hi_u32 v5, v0, s6
	s_mov_b32 s18, 0
	v_mul_u32_u24_e32 v5, 0x75, v5
	v_sub_u32_e32 v18, v0, v5
	v_add_u32_e32 v19, 0x75, v18
	v_add_u32_e32 v20, 0xea, v18
                                        ; implicit-def: $vgpr0
                                        ; implicit-def: $vgpr5_vgpr6
; %bb.11:
	s_or_saveexec_b64 s[6:7], s[0:1]
	s_load_dwordx2 s[4:5], s[4:5], 0x0
	v_mov_b32_e32 v17, s18
                                        ; implicit-def: $vgpr9
                                        ; implicit-def: $vgpr10
                                        ; implicit-def: $vgpr22
                                        ; implicit-def: $vgpr23
                                        ; implicit-def: $vgpr13
                                        ; implicit-def: $vgpr21
                                        ; implicit-def: $vgpr7
                                        ; implicit-def: $vgpr14
                                        ; implicit-def: $vgpr16
                                        ; implicit-def: $vgpr11
                                        ; implicit-def: $vgpr12
                                        ; implicit-def: $vgpr15
	s_xor_b64 exec, exec, s[6:7]
	s_cbranch_execz .LBB0_15
; %bb.12:
	s_add_u32 s0, s16, s14
	s_mov_b32 s14, 0x2302303
	v_mul_hi_u32 v7, v0, s14
	s_addc_u32 s1, s17, s15
	s_load_dwordx2 s[0:1], s[0:1], 0x0
	v_lshlrev_b64 v[5:6], 2, v[5:6]
	v_mul_u32_u24_e32 v7, 0x75, v7
	v_sub_u32_e32 v18, v0, v7
	v_mad_u64_u32 v[7:8], s[14:15], s2, v18, 0
	s_waitcnt lgkmcnt(0)
	v_mul_lo_u32 v13, s1, v3
	v_mul_lo_u32 v14, s0, v4
	v_mad_u64_u32 v[9:10], s[0:1], s0, v3, 0
	v_mov_b32_e32 v0, v8
	v_mad_u64_u32 v[11:12], s[0:1], s3, v18, v[0:1]
	v_add3_u32 v10, v10, v14, v13
	v_lshlrev_b64 v[9:10], 2, v[9:10]
	v_mov_b32_e32 v8, v11
	v_mov_b32_e32 v0, s9
	v_add_co_u32_e64 v11, s[0:1], s8, v9
	v_add_u32_e32 v13, 0x1ad, v18
	v_addc_co_u32_e64 v12, s[0:1], v0, v10, s[0:1]
	v_mad_u64_u32 v[9:10], s[0:1], s2, v13, 0
	v_add_co_u32_e64 v0, s[0:1], v11, v5
	v_addc_co_u32_e64 v5, s[0:1], v12, v6, s[0:1]
	v_lshlrev_b64 v[6:7], 2, v[7:8]
	v_mov_b32_e32 v8, v10
	v_mad_u64_u32 v[10:11], s[0:1], s3, v13, v[8:9]
	v_add_u32_e32 v13, 0x35a, v18
	v_mad_u64_u32 v[11:12], s[0:1], s2, v13, 0
	v_add_co_u32_e64 v23, s[0:1], v0, v6
	v_mov_b32_e32 v8, v12
	v_addc_co_u32_e64 v24, s[0:1], v5, v7, s[0:1]
	v_lshlrev_b64 v[6:7], 2, v[9:10]
	v_mad_u64_u32 v[8:9], s[0:1], s3, v13, v[8:9]
	v_add_u32_e32 v19, 0x75, v18
	v_mad_u64_u32 v[9:10], s[0:1], s2, v19, 0
	v_add_co_u32_e64 v25, s[0:1], v0, v6
	v_mov_b32_e32 v12, v8
	v_mov_b32_e32 v8, v10
	v_addc_co_u32_e64 v26, s[0:1], v5, v7, s[0:1]
	v_lshlrev_b64 v[6:7], 2, v[11:12]
	v_mad_u64_u32 v[10:11], s[0:1], s3, v19, v[8:9]
	v_add_u32_e32 v13, 0x222, v18
	v_mad_u64_u32 v[11:12], s[0:1], s2, v13, 0
	v_add_co_u32_e64 v27, s[0:1], v0, v6
	v_mov_b32_e32 v8, v12
	v_addc_co_u32_e64 v28, s[0:1], v5, v7, s[0:1]
	v_lshlrev_b64 v[6:7], 2, v[9:10]
	v_mad_u64_u32 v[8:9], s[0:1], s3, v13, v[8:9]
	v_add_u32_e32 v13, 0x3cf, v18
	v_mad_u64_u32 v[9:10], s[0:1], s2, v13, 0
	v_add_co_u32_e64 v29, s[0:1], v0, v6
	v_mov_b32_e32 v12, v8
	v_mov_b32_e32 v8, v10
	v_addc_co_u32_e64 v30, s[0:1], v5, v7, s[0:1]
	v_lshlrev_b64 v[6:7], 2, v[11:12]
	;; [unrolled: 15-line block ×3, first 2 shown]
	v_mad_u64_u32 v[10:11], s[0:1], s3, v13, v[8:9]
	v_add_u32_e32 v13, 0x444, v18
	v_mad_u64_u32 v[11:12], s[0:1], s2, v13, 0
	v_add_co_u32_e64 v35, s[0:1], v0, v6
	v_mov_b32_e32 v8, v12
	v_addc_co_u32_e64 v36, s[0:1], v5, v7, s[0:1]
	v_lshlrev_b64 v[6:7], 2, v[9:10]
	v_mad_u64_u32 v[8:9], s[0:1], s3, v13, v[8:9]
	v_add_co_u32_e64 v37, s[0:1], v0, v6
	v_mov_b32_e32 v12, v8
	v_addc_co_u32_e64 v38, s[0:1], v5, v7, s[0:1]
	v_lshlrev_b64 v[6:7], 2, v[11:12]
                                        ; implicit-def: $vgpr21
                                        ; implicit-def: $vgpr13
	v_add_co_u32_e64 v39, s[0:1], v0, v6
	v_addc_co_u32_e64 v40, s[0:1], v5, v7, s[0:1]
	global_load_dword v9, v[23:24], off
	global_load_dword v10, v[25:26], off
	;; [unrolled: 1-line block ×9, first 2 shown]
	s_movk_i32 s0, 0x4e
	v_cmp_gt_u32_e64 s[0:1], s0, v18
                                        ; implicit-def: $vgpr23
	s_and_saveexec_b64 s[8:9], s[0:1]
	s_cbranch_execz .LBB0_14
; %bb.13:
	v_add_u32_e32 v8, 0x15f, v18
	v_mad_u64_u32 v[23:24], s[0:1], s2, v8, 0
	v_add_u32_e32 v13, 0x30c, v18
	v_mad_u64_u32 v[25:26], s[0:1], s2, v13, 0
	v_mov_b32_e32 v6, v24
	s_waitcnt vmcnt(0)
	v_mad_u64_u32 v[27:28], s[0:1], s3, v8, v[6:7]
	v_mov_b32_e32 v6, v26
	v_add_u32_e32 v8, 0x4b9, v18
	v_mov_b32_e32 v24, v27
	v_mad_u64_u32 v[26:27], s[0:1], s3, v13, v[6:7]
	v_mad_u64_u32 v[27:28], s[0:1], s2, v8, 0
	v_lshlrev_b64 v[23:24], 2, v[23:24]
	v_add_co_u32_e64 v29, s[0:1], v0, v23
	v_mov_b32_e32 v6, v28
	v_addc_co_u32_e64 v30, s[0:1], v5, v24, s[0:1]
	v_lshlrev_b64 v[23:24], 2, v[25:26]
	v_mad_u64_u32 v[25:26], s[0:1], s3, v8, v[6:7]
	v_add_co_u32_e64 v31, s[0:1], v0, v23
	v_mov_b32_e32 v28, v25
	v_addc_co_u32_e64 v32, s[0:1], v5, v24, s[0:1]
	v_lshlrev_b64 v[23:24], 2, v[27:28]
	v_add_co_u32_e64 v25, s[0:1], v0, v23
	v_addc_co_u32_e64 v26, s[0:1], v5, v24, s[0:1]
	global_load_dword v21, v[29:30], off
	global_load_dword v13, v[31:32], off
	;; [unrolled: 1-line block ×3, first 2 shown]
.LBB0_14:
	s_or_b64 exec, exec, s[8:9]
	v_mov_b32_e32 v17, v18
.LBB0_15:
	s_or_b64 exec, exec, s[6:7]
	s_waitcnt vmcnt(7)
	v_pk_add_f16 v0, v9, v10
	s_waitcnt vmcnt(6)
	v_pk_add_f16 v5, v0, v22
	;; [unrolled: 2-line block ×4, first 2 shown]
	v_pk_add_f16 v0, v23, v13
	v_pk_add_f16 v6, v13, v23 neg_lo:[0,1] neg_hi:[0,1]
	s_movk_i32 s0, 0x3aee
	v_pk_fma_f16 v0, v0, 0.5, v21 op_sel_hi:[1,0,1] neg_lo:[1,0,0] neg_hi:[1,0,0]
	v_pk_mul_f16 v6, v6, s0 op_sel_hi:[1,0]
	v_pk_add_f16 v13, v6, v0 op_sel:[1,0] op_sel_hi:[0,1]
	v_pk_add_f16 v23, v0, v6 op_sel:[0,1] op_sel_hi:[1,0] neg_lo:[0,1] neg_hi:[0,1]
	v_pk_add_f16 v6, v10, v22
	v_pk_fma_f16 v6, v6, 0.5, v9 op_sel_hi:[1,0,1] neg_lo:[1,0,0] neg_hi:[1,0,0]
	v_pk_add_f16 v9, v10, v22 neg_lo:[0,1] neg_hi:[0,1]
	v_pk_mul_f16 v10, v9, s0 op_sel_hi:[1,0]
	v_pk_add_f16 v9, v6, v10 op_sel:[0,1] op_sel_hi:[1,0] neg_lo:[0,1] neg_hi:[0,1]
	v_pk_add_f16 v6, v6, v10 op_sel:[0,1] op_sel_hi:[1,0]
	s_mov_b32 s6, 0xffff
	v_mad_u32_u24 v0, v18, 12, 0
	v_bfi_b32 v10, s6, v6, v9
	ds_write2_b32 v0, v5, v10 offset1:1
	v_bfi_b32 v10, s6, v9, v6
	ds_write_b32 v0, v10 offset:8
	v_pk_add_f16 v10, v11, v12
	v_pk_add_f16 v24, v12, v15
	v_pk_add_f16 v12, v12, v15 neg_lo:[0,1] neg_hi:[0,1]
	v_pk_add_f16 v10, v10, v15
	v_pk_fma_f16 v11, v24, 0.5, v11 op_sel_hi:[1,0,1] neg_lo:[1,0,0] neg_hi:[1,0,0]
	v_pk_mul_f16 v15, v12, s0 op_sel_hi:[1,0]
	v_pk_add_f16 v12, v11, v15 op_sel:[0,1] op_sel_hi:[1,0] neg_lo:[0,1] neg_hi:[0,1]
	v_pk_add_f16 v11, v11, v15 op_sel:[0,1] op_sel_hi:[1,0]
	v_mad_i32_i24 v22, v19, 12, 0
	v_bfi_b32 v15, s6, v11, v12
	ds_write2_b32 v22, v10, v15 offset1:1
	v_bfi_b32 v15, s6, v12, v11
	ds_write_b32 v22, v15 offset:8
	v_pk_add_f16 v15, v14, v16
	v_pk_add_f16 v15, v7, v15
	;; [unrolled: 1-line block ×3, first 2 shown]
	v_pk_add_f16 v7, v14, v7 neg_lo:[0,1] neg_hi:[0,1]
	v_pk_fma_f16 v16, v24, 0.5, v16 op_sel_hi:[1,0,1] neg_lo:[1,0,0] neg_hi:[1,0,0]
	v_pk_mul_f16 v14, v7, s0 op_sel_hi:[1,0]
	v_pk_add_f16 v7, v16, v14 op_sel:[0,1] op_sel_hi:[1,0] neg_lo:[0,1] neg_hi:[0,1]
	v_pk_add_f16 v16, v16, v14 op_sel:[0,1] op_sel_hi:[1,0]
	v_mad_i32_i24 v22, v20, 12, 0
	v_bfi_b32 v14, s6, v16, v7
	s_movk_i32 s0, 0x4e
	v_lshrrev_b32_e32 v21, 16, v13
	ds_write2_b32 v22, v15, v14 offset1:1
	v_bfi_b32 v14, s6, v7, v16
	v_cmp_gt_u32_e64 s[0:1], s0, v18
	ds_write_b32 v22, v14 offset:8
	s_and_saveexec_b64 s[2:3], s[0:1]
	s_cbranch_execz .LBB0_17
; %bb.16:
	v_bfi_b32 v22, s6, v13, v23
	s_mov_b32 s6, 0x5040100
	v_add_u32_e32 v14, 0x1078, v0
	v_perm_b32 v24, v21, v23, s6
	ds_write_b32 v0, v8 offset:4212
	ds_write2_b32 v14, v22, v24 offset1:1
.LBB0_17:
	s_or_b64 exec, exec, s[2:3]
	s_movk_i32 s2, 0x63
	v_lshrrev_b32_e32 v37, 16, v6
	v_lshrrev_b32_e32 v32, 16, v11
	;; [unrolled: 1-line block ×3, first 2 shown]
	v_cmp_gt_u32_e64 s[2:3], s2, v18
	v_lshrrev_b32_e32 v29, 16, v15
	v_lshrrev_b32_e32 v30, 16, v7
	;; [unrolled: 1-line block ×5, first 2 shown]
	s_waitcnt lgkmcnt(0)
	s_barrier
	s_waitcnt lgkmcnt(0)
                                        ; implicit-def: $vgpr25
                                        ; implicit-def: $vgpr24
	s_and_saveexec_b64 s[6:7], s[2:3]
	s_cbranch_execz .LBB0_19
; %bb.18:
	v_lshlrev_b32_e32 v5, 3, v18
	v_sub_u32_e32 v0, v0, v5
	v_add_u32_e32 v7, 0x200, v0
	ds_read2_b32 v[9:10], v7 offset0:70 offset1:169
	v_add_u32_e32 v7, 0x400, v0
	ds_read2_b32 v[11:12], v7 offset0:140 offset1:239
	v_add_u32_e32 v7, 0xc00, v0
	v_add_u32_e32 v13, 0xe00, v0
	ds_read2_b32 v[5:6], v0 offset1:99
	ds_read2_b32 v[7:8], v7 offset0:24 offset1:123
	ds_read2_b32 v[13:14], v13 offset0:94 offset1:193
	ds_read_b32 v24, v0 offset:4752
	v_add_u32_e32 v0, 0x800, v0
	ds_read2_b32 v[15:16], v0 offset0:82 offset1:181
	s_mov_b32 s8, 0xffff
	s_waitcnt lgkmcnt(3)
	v_lshrrev_b32_e32 v31, 16, v7
	s_waitcnt lgkmcnt(2)
	v_lshrrev_b32_e32 v21, 16, v14
	;; [unrolled: 2-line block ×3, first 2 shown]
	v_lshrrev_b32_e32 v40, 16, v6
	v_lshrrev_b32_e32 v37, 16, v9
	;; [unrolled: 1-line block ×5, first 2 shown]
	s_waitcnt lgkmcnt(0)
	v_lshrrev_b32_e32 v29, 16, v15
	v_lshrrev_b32_e32 v30, 16, v16
	v_bfi_b32 v23, s8, v14, v13
.LBB0_19:
	s_or_b64 exec, exec, s[6:7]
	s_movk_i32 s6, 0xab
	v_mul_lo_u16_sdwa v0, v18, s6 dst_sel:DWORD dst_unused:UNUSED_PAD src0_sel:BYTE_0 src1_sel:DWORD
	v_lshrrev_b16_e32 v0, 9, v0
	v_mul_lo_u16_e32 v14, 3, v0
	v_sub_u16_e32 v14, v18, v14
	v_mov_b32_e32 v22, 12
	v_mul_u32_u24_sdwa v22, v14, v22 dst_sel:DWORD dst_unused:UNUSED_PAD src0_sel:BYTE_0 src1_sel:DWORD
	v_lshlrev_b32_e32 v22, 2, v22
	global_load_dwordx4 v[33:36], v22, s[12:13] offset:32
	global_load_dwordx4 v[41:44], v22, s[12:13] offset:16
	global_load_dwordx4 v[47:50], v22, s[12:13]
	v_lshrrev_b32_e32 v22, 16, v23
	v_lshrrev_b32_e32 v45, 16, v8
	s_movk_i32 s8, 0x388b
	s_mov_b32 s9, 0xb5ac
	s_movk_i32 s15, 0x2fb7
	s_mov_b32 s14, 0xbbc4
	s_mov_b32 s16, 0xb9fd
	s_movk_i32 s17, 0x3b15
	s_waitcnt vmcnt(0)
	s_barrier
	v_mul_f16_sdwa v26, v22, v34 dst_sel:DWORD dst_unused:UNUSED_PAD src0_sel:DWORD src1_sel:WORD_1
	v_mul_f16_sdwa v27, v13, v34 dst_sel:DWORD dst_unused:UNUSED_PAD src0_sel:DWORD src1_sel:WORD_1
	;; [unrolled: 1-line block ×13, first 2 shown]
	v_fma_f16 v26, v13, v34, -v26
	v_fma_f16 v22, v22, v34, v27
	v_fma_f16 v27, v23, v35, -v28
	v_fma_f16 v28, v24, v36, -v51
	v_fma_f16 v24, v25, v36, v52
	v_fma_f16 v34, v15, v42, -v55
	v_fma_f16 v29, v29, v42, v57
	v_fma_f16 v32, v32, v41, v61
	v_fma_f16 v42, v12, v41, -v62
	v_fma_f16 v41, v40, v47, v69
	v_mul_f16_sdwa v59, v31, v44 dst_sel:DWORD dst_unused:UNUSED_PAD src0_sel:DWORD src1_sel:WORD_1
	v_mul_f16_sdwa v60, v7, v44 dst_sel:DWORD dst_unused:UNUSED_PAD src0_sel:DWORD src1_sel:WORD_1
	;; [unrolled: 1-line block ×5, first 2 shown]
	v_fma_f16 v23, v21, v35, v46
	v_fma_f16 v37, v37, v48, v65
	v_fma_f16 v47, v6, v47, -v70
	v_sub_f16_e32 v51, v41, v24
	v_mul_f16_sdwa v53, v8, v33 dst_sel:DWORD dst_unused:UNUSED_PAD src0_sel:DWORD src1_sel:WORD_1
	v_mul_f16_sdwa v54, v45, v33 dst_sel:DWORD dst_unused:UNUSED_PAD src0_sel:DWORD src1_sel:WORD_1
	v_mul_f16_sdwa v56, v30, v43 dst_sel:DWORD dst_unused:UNUSED_PAD src0_sel:DWORD src1_sel:WORD_1
	v_mul_f16_sdwa v64, v38, v49 dst_sel:DWORD dst_unused:UNUSED_PAD src0_sel:DWORD src1_sel:WORD_1
	v_fma_f16 v36, v7, v44, -v59
	v_fma_f16 v31, v31, v44, v60
	v_fma_f16 v44, v9, v48, -v63
	v_fma_f16 v46, v11, v50, -v67
	v_fma_f16 v39, v39, v50, v68
	v_add_f16_e32 v6, v47, v28
	v_sub_f16_e32 v50, v37, v23
	v_sub_f16_e32 v55, v47, v28
	v_mul_f16_e32 v57, 0xba95, v51
	v_mul_f16_sdwa v66, v10, v49 dst_sel:DWORD dst_unused:UNUSED_PAD src0_sel:DWORD src1_sel:WORD_1
	v_fma_f16 v25, v45, v33, v53
	v_fma_f16 v33, v8, v33, -v54
	v_fma_f16 v35, v16, v43, -v56
	;; [unrolled: 1-line block ×3, first 2 shown]
	v_add_f16_e32 v7, v44, v27
	v_add_f16_e32 v8, v41, v24
	v_sub_f16_e32 v54, v44, v27
	v_mul_f16_e32 v56, 0xbb7b, v50
	v_mul_f16_e32 v61, 0xba95, v55
	v_mul_f16_e32 v65, 0xbbf1, v51
	v_mul_f16_e32 v71, 0xbbf1, v55
	v_fma_f16 v10, v6, s8, v57
	v_add_f16_e32 v9, v37, v23
	v_mul_f16_e32 v60, 0xbb7b, v54
	v_mul_f16_e32 v64, 0xb3a8, v50
	v_fma_f16 v11, v7, s9, v56
	v_fma_f16 v12, v8, s8, -v61
	v_fma_f16 v15, v6, s15, v65
	v_fma_f16 v21, v8, s15, -v71
	v_add_f16_e32 v10, v5, v10
	v_mul_f16_e32 v76, 0xb3a8, v54
	v_mul_f16_sdwa v58, v16, v43 dst_sel:DWORD dst_unused:UNUSED_PAD src0_sel:DWORD src1_sel:WORD_1
	v_fma_f16 v13, v9, s9, -v60
	v_fma_f16 v16, v7, s14, v64
	v_add_f16_sdwa v12, v5, v12 dst_sel:DWORD dst_unused:UNUSED_PAD src0_sel:WORD_1 src1_sel:DWORD
	v_add_f16_e32 v15, v5, v15
	v_add_f16_sdwa v21, v5, v21 dst_sel:DWORD dst_unused:UNUSED_PAD src0_sel:WORD_1 src1_sel:DWORD
	v_add_f16_e32 v11, v11, v10
	v_fma_f16 v10, v9, s14, -v76
	v_mul_f16_e32 v83, 0xbb7b, v51
	v_add_f16_e32 v12, v13, v12
	v_add_f16_e32 v13, v16, v15
	;; [unrolled: 1-line block ×3, first 2 shown]
	v_fma_f16 v10, v6, s9, v83
	v_mul_f16_e32 v84, 0x394e, v50
	v_add_f16_e32 v10, v5, v10
	v_fma_f16 v16, v7, s16, v84
	v_mul_f16_e32 v90, 0xbb7b, v55
	v_fma_f16 v38, v38, v49, v66
	v_add_f16_e32 v16, v16, v10
	v_fma_f16 v10, v8, s9, -v90
	v_mul_f16_e32 v91, 0x394e, v54
	v_add_f16_sdwa v10, v5, v10 dst_sel:DWORD dst_unused:UNUSED_PAD src0_sel:WORD_1 src1_sel:DWORD
	v_fma_f16 v21, v9, s16, -v91
	v_sub_f16_e32 v59, v38, v22
	v_add_f16_e32 v21, v21, v10
	v_add_f16_e32 v10, v45, v26
	v_mul_f16_e32 v66, 0xb3a8, v59
	v_fma_f16 v40, v10, s14, v66
	v_sub_f16_e32 v62, v45, v26
	v_add_f16_e32 v11, v40, v11
	v_add_f16_e32 v40, v38, v22
	v_mul_f16_e32 v69, 0xb3a8, v62
	v_fma_f16 v30, v30, v43, v58
	v_fma_f16 v43, v40, s14, -v69
	v_mul_f16_e32 v72, 0x3b7b, v59
	v_add_f16_e32 v12, v43, v12
	v_fma_f16 v43, v10, s9, v72
	v_mul_f16_e32 v81, 0x3b7b, v62
	v_add_f16_e32 v13, v43, v13
	v_fma_f16 v43, v40, s9, -v81
	v_mul_f16_e32 v88, 0x3770, v59
	v_add_f16_e32 v15, v43, v15
	v_fma_f16 v43, v10, s17, v88
	v_mul_f16_e32 v94, 0x3770, v62
	v_add_f16_e32 v16, v43, v16
	v_fma_f16 v43, v40, s17, -v94
	v_sub_f16_e32 v63, v39, v25
	v_add_f16_e32 v21, v43, v21
	v_add_f16_e32 v43, v46, v33
	v_mul_f16_e32 v70, 0x394e, v63
	v_fma_f16 v48, v43, s16, v70
	v_sub_f16_e32 v67, v46, v33
	v_add_f16_e32 v11, v48, v11
	v_add_f16_e32 v48, v39, v25
	v_mul_f16_e32 v75, 0x394e, v67
	v_fma_f16 v49, v48, s16, -v75
	v_mul_f16_e32 v78, 0x3770, v63
	v_add_f16_e32 v12, v49, v12
	v_fma_f16 v49, v43, s17, v78
	v_mul_f16_e32 v87, 0x3770, v67
	v_add_f16_e32 v13, v49, v13
	v_fma_f16 v49, v48, s17, -v87
	v_mul_f16_e32 v93, 0xbbf1, v63
	v_add_f16_e32 v15, v49, v15
	v_fma_f16 v49, v43, s15, v93
	v_mul_f16_e32 v97, 0xbbf1, v67
	v_add_f16_e32 v16, v49, v16
	v_fma_f16 v49, v48, s15, -v97
	v_sub_f16_e32 v68, v32, v31
	v_add_f16_e32 v21, v49, v21
	v_add_f16_e32 v49, v42, v36
	v_mul_f16_e32 v77, 0x3bf1, v68
	v_fma_f16 v52, v49, s15, v77
	v_sub_f16_e32 v73, v42, v36
	v_add_f16_e32 v11, v52, v11
	v_add_f16_e32 v52, v32, v31
	v_mul_f16_e32 v80, 0x3bf1, v73
	v_fma_f16 v53, v52, s15, -v80
	v_mul_f16_e32 v85, 0xba95, v68
	v_add_f16_e32 v12, v53, v12
	v_fma_f16 v53, v49, s8, v85
	v_mul_f16_e32 v92, 0xba95, v73
	v_add_f16_e32 v95, v53, v13
	v_fma_f16 v13, v52, s8, -v92
	v_mul_f16_e32 v96, 0x33a8, v68
	v_add_f16_e32 v98, v13, v15
	v_fma_f16 v13, v49, s14, v96
	v_mul_f16_e32 v99, 0x33a8, v73
	v_sub_f16_e32 v74, v29, v30
	v_add_f16_e32 v16, v13, v16
	v_fma_f16 v13, v52, s14, -v99
	v_add_f16_e32 v53, v34, v35
	v_mul_f16_e32 v82, 0x3770, v74
	v_sub_f16_e32 v79, v34, v35
	v_add_f16_e32 v101, v13, v21
	v_fma_f16 v13, v53, s17, v82
	v_add_f16_e32 v58, v29, v30
	v_mul_f16_e32 v86, 0x3770, v79
	v_add_f16_e32 v11, v13, v11
	v_fma_f16 v13, v58, s17, -v86
	v_mul_f16_e32 v89, 0xb94e, v74
	v_add_f16_e32 v13, v13, v12
	v_fma_f16 v12, v53, s16, v89
	v_add_f16_e32 v15, v12, v95
	v_mul_f16_e32 v95, 0xb94e, v79
	v_fma_f16 v12, v58, s16, -v95
	v_add_f16_e32 v21, v12, v98
	v_mul_f16_e32 v98, 0x3a95, v74
	v_fma_f16 v12, v53, s8, v98
	v_mul_f16_e32 v100, 0x3a95, v79
	v_add_f16_e32 v12, v12, v16
	v_fma_f16 v16, v58, s8, -v100
	v_add_f16_e32 v16, v16, v101
	s_and_saveexec_b64 s[6:7], s[2:3]
	s_cbranch_execz .LBB0_21
; %bb.20:
	v_mul_f16_e32 v101, 0xb3a8, v55
	v_fma_f16 v102, v8, s14, v101
	v_mul_f16_e32 v103, 0x3770, v54
	v_add_f16_sdwa v102, v5, v102 dst_sel:DWORD dst_unused:UNUSED_PAD src0_sel:WORD_1 src1_sel:DWORD
	v_fma_f16 v104, v9, s17, v103
	v_add_f16_e32 v102, v104, v102
	v_mul_f16_e32 v104, 0xb94e, v62
	v_fma_f16 v105, v40, s16, v104
	v_add_f16_e32 v102, v105, v102
	v_mul_f16_e32 v105, 0x3a95, v67
	;; [unrolled: 3-line block ×5, first 2 shown]
	v_fma_f16 v109, v6, s14, -v108
	v_mul_f16_e32 v110, 0x3770, v50
	v_add_f16_e32 v109, v5, v109
	v_fma_f16 v111, v7, s17, -v110
	v_add_f16_e32 v109, v111, v109
	v_mul_f16_e32 v111, 0xb94e, v59
	v_fma_f16 v112, v10, s16, -v111
	v_add_f16_e32 v109, v112, v109
	v_mul_f16_e32 v112, 0x3a95, v63
	;; [unrolled: 3-line block ×5, first 2 shown]
	v_fma_f16 v116, v8, s16, v115
	v_mul_f16_e32 v117, 0x3bf1, v54
	v_add_f16_sdwa v116, v5, v116 dst_sel:DWORD dst_unused:UNUSED_PAD src0_sel:WORD_1 src1_sel:DWORD
	v_fma_f16 v118, v9, s15, v117
	v_add_f16_e32 v116, v118, v116
	v_mul_f16_e32 v118, 0xba95, v62
	v_fma_f16 v119, v40, s8, v118
	v_add_f16_e32 v116, v119, v116
	v_mul_f16_e32 v119, 0x33a8, v67
	;; [unrolled: 3-line block ×5, first 2 shown]
	v_fma_f16 v123, v6, s16, -v122
	v_mul_f16_e32 v124, 0x3bf1, v50
	v_add_f16_e32 v123, v5, v123
	v_fma_f16 v125, v7, s15, -v124
	v_add_f16_e32 v123, v125, v123
	v_mul_f16_e32 v125, 0xba95, v59
	v_fma_f16 v126, v10, s8, -v125
	v_add_f16_e32 v123, v126, v123
	v_mul_f16_e32 v126, 0x33a8, v63
	;; [unrolled: 3-line block ×5, first 2 shown]
	v_add_f16_e32 v90, v90, v129
	v_mul_f16_e32 v129, 0xb9fd, v9
	v_add_f16_e32 v47, v5, v47
	v_add_f16_e32 v91, v91, v129
	v_add_f16_sdwa v90, v5, v90 dst_sel:DWORD dst_unused:UNUSED_PAD src0_sel:WORD_1 src1_sel:DWORD
	v_add_f16_e32 v44, v47, v44
	v_add_f16_e32 v90, v91, v90
	v_mul_f16_e32 v91, 0x3b15, v40
	v_add_f16_e32 v44, v44, v45
	v_add_f16_e32 v91, v94, v91
	v_add_f16_e32 v44, v44, v46
	v_add_f16_e32 v90, v91, v90
	v_mul_f16_e32 v91, 0x2fb7, v48
	v_add_f16_e32 v42, v44, v42
	v_add_f16_e32 v91, v97, v91
	;; [unrolled: 5-line block ×4, first 2 shown]
	v_add_f16_e32 v26, v33, v26
	v_add_f16_e32 v90, v91, v90
	v_mul_f16_e32 v91, 0xb5ac, v6
	v_add_f16_e32 v26, v26, v27
	v_add_f16_sdwa v27, v5, v41 dst_sel:DWORD dst_unused:UNUSED_PAD src0_sel:WORD_1 src1_sel:DWORD
	v_sub_f16_e32 v83, v91, v83
	v_mul_f16_e32 v91, 0xb9fd, v7
	v_add_f16_e32 v27, v27, v37
	v_sub_f16_e32 v84, v91, v84
	v_add_f16_e32 v83, v5, v83
	v_mul_f16_e32 v94, 0x2fb7, v8
	v_add_f16_e32 v27, v27, v38
	v_add_f16_e32 v83, v84, v83
	v_mul_f16_e32 v84, 0x3b15, v10
	v_add_f16_e32 v71, v71, v94
	v_mul_f16_e32 v94, 0xbbc4, v9
	v_add_f16_e32 v27, v27, v39
	v_sub_f16_e32 v84, v84, v88
	v_add_f16_e32 v76, v76, v94
	v_add_f16_sdwa v71, v5, v71 dst_sel:DWORD dst_unused:UNUSED_PAD src0_sel:WORD_1 src1_sel:DWORD
	v_add_f16_e32 v27, v27, v32
	v_add_f16_e32 v83, v84, v83
	v_mul_f16_e32 v84, 0x2fb7, v43
	v_add_f16_e32 v71, v76, v71
	v_mul_f16_e32 v76, 0xb5ac, v40
	v_add_f16_e32 v27, v27, v29
	v_sub_f16_e32 v84, v84, v93
	v_add_f16_e32 v76, v81, v76
	v_add_f16_e32 v27, v27, v30
	;; [unrolled: 1-line block ×3, first 2 shown]
	v_mul_f16_e32 v84, 0xbbc4, v49
	v_add_f16_e32 v71, v76, v71
	v_mul_f16_e32 v76, 0x3b15, v48
	v_add_f16_e32 v27, v27, v31
	v_sub_f16_e32 v84, v84, v96
	v_add_f16_e32 v76, v87, v76
	v_add_f16_e32 v25, v27, v25
	;; [unrolled: 1-line block ×3, first 2 shown]
	v_mul_f16_e32 v84, 0x388b, v53
	v_add_f16_e32 v71, v76, v71
	v_mul_f16_e32 v76, 0x388b, v52
	v_add_f16_e32 v22, v25, v22
	v_mul_f16_e32 v88, 0x388b, v6
	v_sub_f16_e32 v84, v84, v98
	v_add_f16_e32 v76, v92, v76
	v_add_f16_e32 v22, v22, v23
	v_fma_f16 v23, v8, s14, -v101
	v_mul_f16_e32 v91, 0x388b, v8
	v_mul_f16_e32 v93, 0x2fb7, v6
	v_add_f16_e32 v83, v84, v83
	v_mul_f16_e32 v84, 0xb5ac, v7
	v_add_f16_e32 v71, v76, v71
	v_mul_f16_e32 v76, 0xb9fd, v58
	v_sub_f16_e32 v57, v88, v57
	v_add_f16_e32 v22, v22, v24
	v_add_f16_sdwa v23, v5, v23 dst_sel:DWORD dst_unused:UNUSED_PAD src0_sel:WORD_1 src1_sel:DWORD
	v_fma_f16 v24, v9, s17, -v103
	v_mul_f16_e32 v94, 0xb5ac, v9
	v_mul_f16_e32 v81, 0xbbc4, v7
	;; [unrolled: 1-line block ×3, first 2 shown]
	v_add_f16_e32 v76, v95, v76
	v_sub_f16_e32 v65, v93, v65
	v_add_f16_e32 v61, v61, v91
	v_add_f16_e32 v57, v5, v57
	v_sub_f16_e32 v56, v84, v56
	v_add_f16_e32 v23, v24, v23
	v_fma_f16 v24, v40, s16, -v104
	v_mul_f16_e32 v92, 0xbbc4, v40
	v_mul_f16_e32 v95, 0xb5ac, v10
	v_add_f16_e32 v71, v76, v71
	v_mul_f16_e32 v76, 0xb9fd, v43
	v_sub_f16_e32 v64, v81, v64
	v_add_f16_e32 v65, v5, v65
	v_add_f16_sdwa v61, v5, v61 dst_sel:DWORD dst_unused:UNUSED_PAD src0_sel:WORD_1 src1_sel:DWORD
	v_add_f16_e32 v60, v60, v94
	v_add_f16_e32 v56, v56, v57
	v_sub_f16_e32 v57, v87, v66
	v_add_f16_e32 v23, v24, v23
	v_fma_f16 v24, v48, s8, -v105
	v_mul_f16_e32 v93, 0xb9fd, v48
	v_mul_f16_e32 v81, 0x3b15, v43
	v_add_f16_e32 v64, v64, v65
	v_mul_f16_e32 v65, 0x2fb7, v49
	v_sub_f16_e32 v72, v95, v72
	v_add_f16_e32 v60, v60, v61
	v_add_f16_e32 v61, v69, v92
	;; [unrolled: 1-line block ×3, first 2 shown]
	v_sub_f16_e32 v57, v76, v70
	v_add_f16_e32 v23, v24, v23
	v_fma_f16 v24, v52, s9, -v106
	v_mul_f16_e32 v95, 0x2fb7, v52
	v_add_f16_e32 v64, v72, v64
	v_sub_f16_e32 v78, v81, v78
	v_mul_f16_e32 v81, 0x3b15, v53
	v_add_f16_e32 v60, v61, v60
	v_add_f16_e32 v61, v75, v93
	;; [unrolled: 1-line block ×3, first 2 shown]
	v_sub_f16_e32 v57, v65, v77
	v_add_f16_e32 v23, v24, v23
	v_fma_f16 v24, v58, s15, -v107
	v_add_f16_e32 v64, v78, v64
	v_mul_f16_e32 v78, 0x3b15, v58
	v_add_f16_e32 v60, v61, v60
	v_add_f16_e32 v61, v80, v95
	;; [unrolled: 1-line block ×3, first 2 shown]
	v_sub_f16_e32 v57, v81, v82
	v_mul_f16_e32 v55, 0xb770, v55
	v_add_f16_e32 v23, v24, v23
	v_fma_f16 v24, v6, s14, v108
	v_add_f16_e32 v60, v61, v60
	v_add_f16_e32 v61, v86, v78
	v_add_f16_e32 v56, v57, v56
	v_fma_f16 v57, v8, s17, v55
	v_mul_f16_e32 v54, 0xba95, v54
	v_add_f16_e32 v24, v5, v24
	v_fma_f16 v25, v7, s17, v110
	v_add_f16_e32 v60, v61, v60
	v_add_f16_sdwa v57, v5, v57 dst_sel:DWORD dst_unused:UNUSED_PAD src0_sel:WORD_1 src1_sel:DWORD
	v_fma_f16 v61, v9, s8, v54
	v_add_f16_e32 v24, v25, v24
	v_fma_f16 v25, v10, s16, v111
	v_add_f16_e32 v57, v61, v57
	v_mul_f16_e32 v61, 0xbbf1, v62
	v_add_f16_e32 v24, v25, v24
	v_fma_f16 v25, v43, s8, v112
	v_fma_f16 v62, v40, s15, v61
	v_add_f16_e32 v24, v25, v24
	v_fma_f16 v25, v49, s9, v113
	v_add_f16_e32 v57, v62, v57
	v_mul_f16_e32 v62, 0xbb7b, v67
	v_add_f16_e32 v24, v25, v24
	v_fma_f16 v25, v53, s15, v114
	v_fma_f16 v65, v48, s9, v62
	v_add_f16_e32 v24, v25, v24
	v_fma_f16 v25, v8, s16, -v115
	v_add_f16_e32 v57, v65, v57
	v_mul_f16_e32 v65, 0xb94e, v73
	v_add_f16_sdwa v25, v5, v25 dst_sel:DWORD dst_unused:UNUSED_PAD src0_sel:WORD_1 src1_sel:DWORD
	v_fma_f16 v27, v9, s15, -v117
	v_fma_f16 v66, v52, s16, v65
	v_add_f16_e32 v25, v27, v25
	v_fma_f16 v27, v40, s8, -v118
	v_add_f16_e32 v57, v66, v57
	v_mul_f16_e32 v66, 0xb3a8, v79
	v_add_f16_e32 v25, v27, v25
	v_fma_f16 v27, v48, s14, -v119
	v_fma_f16 v67, v58, s14, v66
	v_mul_f16_e32 v51, 0xb770, v51
	v_add_f16_e32 v25, v27, v25
	v_fma_f16 v27, v52, s17, -v120
	v_add_f16_e32 v57, v67, v57
	v_fma_f16 v67, v6, s17, -v51
	v_mul_f16_e32 v50, 0xba95, v50
	v_add_f16_e32 v25, v27, v25
	v_fma_f16 v27, v58, s9, -v121
	v_add_f16_e32 v67, v5, v67
	v_fma_f16 v69, v7, s8, -v50
	v_mul_f16_e32 v59, 0xbbf1, v59
	v_add_f16_e32 v25, v27, v25
	v_fma_f16 v27, v6, s16, v122
	v_fma_f16 v8, v8, s17, -v55
	v_fma_f16 v6, v6, s17, v51
	v_add_f16_e32 v67, v69, v67
	v_fma_f16 v69, v10, s15, -v59
	v_mul_f16_e32 v63, 0xbb7b, v63
	v_add_f16_e32 v27, v5, v27
	v_add_f16_sdwa v8, v5, v8 dst_sel:DWORD dst_unused:UNUSED_PAD src0_sel:WORD_1 src1_sel:DWORD
	v_add_f16_e32 v5, v5, v6
	v_fma_f16 v6, v7, s8, v50
	v_add_f16_e32 v67, v69, v67
	v_fma_f16 v69, v43, s9, -v63
	v_mul_f16_e32 v68, 0xb94e, v68
	v_add_f16_e32 v5, v6, v5
	v_fma_f16 v6, v10, s15, v59
	v_add_f16_e32 v67, v69, v67
	v_fma_f16 v69, v49, s16, -v68
	v_add_f16_e32 v5, v6, v5
	v_fma_f16 v6, v43, s9, v63
	v_add_f16_e32 v67, v69, v67
	v_mul_f16_e32 v69, 0xb3a8, v74
	v_add_f16_e32 v5, v6, v5
	v_fma_f16 v6, v49, s16, v68
	v_mul_f16_e32 v72, 0x388b, v49
	v_add_f16_e32 v5, v6, v5
	v_fma_f16 v6, v53, s14, v69
	v_sub_f16_e32 v72, v72, v85
	v_mul_f16_e32 v85, 0xb9fd, v53
	v_fma_f16 v70, v53, s14, -v69
	v_add_f16_e32 v26, v26, v28
	v_fma_f16 v28, v7, s15, v124
	v_add_f16_e32 v5, v6, v5
	v_mov_b32_e32 v6, 2
	v_add_f16_e32 v64, v72, v64
	v_sub_f16_e32 v72, v85, v89
	v_add_f16_e32 v67, v70, v67
	v_add_f16_e32 v27, v28, v27
	v_fma_f16 v28, v10, s8, v125
	v_fma_f16 v9, v9, s8, -v54
	v_mul_u32_u24_e32 v0, 0x9c, v0
	v_lshlrev_b32_sdwa v6, v6, v14 dst_sel:DWORD dst_unused:UNUSED_PAD src0_sel:DWORD src1_sel:BYTE_0
	v_add_f16_e32 v64, v72, v64
	v_add_f16_e32 v27, v28, v27
	v_fma_f16 v28, v43, s14, v126
	v_add_f16_e32 v8, v9, v8
	v_fma_f16 v9, v40, s15, -v61
	v_add3_u32 v0, 0, v0, v6
	v_pack_b32_f16 v6, v26, v22
	v_pack_b32_f16 v7, v67, v57
	v_add_f16_e32 v27, v28, v27
	v_fma_f16 v28, v49, s17, v127
	v_add_f16_e32 v8, v9, v8
	v_fma_f16 v9, v48, s9, -v62
	ds_write2_b32 v0, v6, v7 offset1:3
	v_pack_b32_f16 v6, v56, v60
	v_pack_b32_f16 v7, v64, v71
	v_add_f16_e32 v27, v28, v27
	v_fma_f16 v28, v53, s9, v128
	v_add_f16_e32 v8, v9, v8
	v_fma_f16 v9, v52, s16, -v65
	ds_write2_b32 v0, v6, v7 offset0:6 offset1:9
	v_pack_b32_f16 v6, v83, v90
	v_pack_b32_f16 v7, v123, v116
	v_add_f16_e32 v27, v28, v27
	v_add_f16_e32 v8, v9, v8
	v_fma_f16 v9, v58, s14, -v66
	ds_write2_b32 v0, v6, v7 offset0:12 offset1:15
	v_pack_b32_f16 v6, v109, v102
	v_pack_b32_f16 v7, v24, v23
	s_mov_b32 s2, 0x5040100
	v_add_f16_e32 v8, v9, v8
	ds_write2_b32 v0, v6, v7 offset0:18 offset1:21
	v_pack_b32_f16 v6, v27, v25
	v_perm_b32 v7, v16, v12, s2
	ds_write2_b32 v0, v6, v7 offset0:24 offset1:27
	v_perm_b32 v6, v21, v15, s2
	v_perm_b32 v7, v13, v11, s2
	v_pack_b32_f16 v5, v5, v8
	ds_write2_b32 v0, v6, v7 offset0:30 offset1:33
	ds_write_b32 v0, v5 offset:144
.LBB0_21:
	s_or_b64 exec, exec, s[6:7]
	v_lshl_add_u32 v0, v18, 2, 0
	v_add_u32_e32 v5, 0x600, v0
	v_add_u32_e32 v7, 0xa00, v0
	;; [unrolled: 1-line block ×3, first 2 shown]
	s_waitcnt lgkmcnt(0)
	s_barrier
	ds_read2_b32 v[5:6], v5 offset0:45 offset1:162
	ds_read2_b32 v[7:8], v7 offset0:23 offset1:218
	v_lshl_add_u32 v14, v19, 2, 0
	ds_read2_b32 v[9:10], v9 offset0:79 offset1:196
	v_lshl_add_u32 v22, v20, 2, 0
	ds_read_b32 v25, v0
	ds_read_b32 v24, v14
	;; [unrolled: 1-line block ×3, first 2 shown]
	s_and_saveexec_b64 s[2:3], s[0:1]
	s_cbranch_execz .LBB0_23
; %bb.22:
	ds_read_b32 v12, v0 offset:1404
	ds_read_b32 v11, v0 offset:4836
	;; [unrolled: 1-line block ×3, first 2 shown]
	s_waitcnt lgkmcnt(2)
	v_lshrrev_b32_e32 v16, 16, v12
	s_waitcnt lgkmcnt(1)
	v_lshrrev_b32_e32 v13, 16, v11
	;; [unrolled: 2-line block ×3, first 2 shown]
.LBB0_23:
	s_or_b64 exec, exec, s[2:3]
	s_movk_i32 s2, 0xa5
	v_mul_lo_u16_sdwa v28, v19, s2 dst_sel:DWORD dst_unused:UNUSED_PAD src0_sel:BYTE_0 src1_sel:DWORD
	v_sub_u16_sdwa v29, v19, v28 dst_sel:DWORD dst_unused:UNUSED_PAD src0_sel:DWORD src1_sel:BYTE_1
	v_lshrrev_b16_e32 v29, 1, v29
	v_mul_lo_u16_sdwa v26, v18, s2 dst_sel:DWORD dst_unused:UNUSED_PAD src0_sel:BYTE_0 src1_sel:DWORD
	v_and_b32_e32 v29, 0x7f, v29
	v_sub_u16_sdwa v27, v18, v26 dst_sel:DWORD dst_unused:UNUSED_PAD src0_sel:DWORD src1_sel:BYTE_1
	v_add_u16_sdwa v28, v29, v28 dst_sel:DWORD dst_unused:UNUSED_PAD src0_sel:DWORD src1_sel:BYTE_1
	v_lshrrev_b16_e32 v27, 1, v27
	v_lshrrev_b16_e32 v28, 5, v28
	v_and_b32_e32 v27, 0x7f, v27
	v_and_b32_e32 v32, 7, v28
	v_add_u16_sdwa v26, v27, v26 dst_sel:DWORD dst_unused:UNUSED_PAD src0_sel:DWORD src1_sel:BYTE_1
	v_mul_lo_u16_e32 v28, 39, v32
	s_mov_b32 s8, 0xa41b
	v_lshrrev_b16_e32 v26, 5, v26
	v_sub_u16_e32 v33, v19, v28
	v_mul_u32_u24_sdwa v28, v20, s8 dst_sel:DWORD dst_unused:UNUSED_PAD src0_sel:WORD_0 src1_sel:DWORD
	v_and_b32_e32 v30, 7, v26
	v_sub_u16_sdwa v29, v20, v28 dst_sel:DWORD dst_unused:UNUSED_PAD src0_sel:DWORD src1_sel:WORD_1
	v_mul_lo_u16_e32 v26, 39, v30
	v_lshrrev_b16_e32 v29, 1, v29
	v_sub_u16_e32 v31, v18, v26
	v_mov_b32_e32 v26, 3
	v_add_u16_sdwa v28, v29, v28 dst_sel:DWORD dst_unused:UNUSED_PAD src0_sel:DWORD src1_sel:WORD_1
	v_lshlrev_b32_sdwa v27, v26, v31 dst_sel:DWORD dst_unused:UNUSED_PAD src0_sel:DWORD src1_sel:BYTE_0
	v_lshlrev_b32_sdwa v19, v26, v33 dst_sel:DWORD dst_unused:UNUSED_PAD src0_sel:DWORD src1_sel:BYTE_0
	v_lshrrev_b16_e32 v34, 5, v28
	global_load_dwordx2 v[26:27], v27, s[12:13] offset:144
	s_waitcnt lgkmcnt(5)
	v_lshrrev_b32_e32 v39, 16, v5
	global_load_dwordx2 v[28:29], v19, s[12:13] offset:144
	v_mul_lo_u16_e32 v19, 39, v34
	v_sub_u16_e32 v35, v20, v19
	v_lshlrev_b32_e32 v19, 3, v35
	global_load_dwordx2 v[19:20], v19, s[12:13] offset:144
	s_waitcnt lgkmcnt(4)
	v_lshrrev_b32_e32 v40, 16, v8
	v_lshrrev_b32_e32 v41, 16, v6
	s_waitcnt lgkmcnt(3)
	v_lshrrev_b32_e32 v42, 16, v9
	v_lshrrev_b32_e32 v43, 16, v7
	;; [unrolled: 1-line block ×3, first 2 shown]
	s_waitcnt lgkmcnt(1)
	v_lshrrev_b32_e32 v37, 16, v24
	v_lshrrev_b32_e32 v36, 16, v25
	s_movk_i32 s6, 0x3aee
	s_mov_b32 s7, 0xbaee
	s_waitcnt lgkmcnt(0)
	v_lshrrev_b32_e32 v38, 16, v23
	s_movk_i32 s2, 0x1d4
	s_waitcnt vmcnt(0)
	s_barrier
	v_mul_f16_sdwa v45, v26, v39 dst_sel:DWORD dst_unused:UNUSED_PAD src0_sel:WORD_1 src1_sel:DWORD
	v_mul_f16_sdwa v47, v27, v40 dst_sel:DWORD dst_unused:UNUSED_PAD src0_sel:WORD_1 src1_sel:DWORD
	;; [unrolled: 1-line block ×10, first 2 shown]
	v_fma_f16 v5, v26, v5, -v45
	v_fma_f16 v8, v27, v8, -v47
	;; [unrolled: 1-line block ×3, first 2 shown]
	v_fma_f16 v28, v28, v41, v50
	v_fma_f16 v9, v29, v9, -v51
	v_fma_f16 v29, v29, v42, v52
	v_mul_f16_sdwa v54, v19, v7 dst_sel:DWORD dst_unused:UNUSED_PAD src0_sel:WORD_1 src1_sel:DWORD
	v_mul_f16_sdwa v56, v20, v10 dst_sel:DWORD dst_unused:UNUSED_PAD src0_sel:WORD_1 src1_sel:DWORD
	v_fma_f16 v26, v26, v39, v46
	v_fma_f16 v27, v27, v40, v48
	v_fma_f16 v7, v19, v7, -v53
	v_fma_f16 v10, v20, v10, -v55
	v_add_f16_e32 v40, v5, v8
	v_sub_f16_e32 v45, v28, v29
	v_add_f16_e32 v46, v37, v28
	v_add_f16_e32 v28, v28, v29
	v_fma_f16 v19, v19, v43, v54
	v_fma_f16 v20, v20, v44, v56
	v_add_f16_e32 v39, v25, v5
	v_add_f16_e32 v43, v24, v6
	v_add_f16_e32 v44, v6, v9
	v_sub_f16_e32 v6, v6, v9
	v_fma_f16 v25, v40, -0.5, v25
	v_fma_f16 v28, v28, -0.5, v37
	v_add_f16_e32 v40, v7, v10
	v_sub_f16_e32 v41, v26, v27
	v_add_f16_e32 v42, v36, v26
	v_add_f16_e32 v26, v26, v27
	v_sub_f16_e32 v5, v5, v8
	v_add_f16_e32 v8, v39, v8
	v_fma_f16 v39, v6, s7, v28
	v_fma_f16 v6, v6, s6, v28
	v_add_f16_e32 v28, v23, v7
	v_fma_f16 v23, v40, -0.5, v23
	v_sub_f16_e32 v40, v19, v20
	v_fma_f16 v26, v26, -0.5, v36
	v_fma_f16 v36, v41, s6, v25
	v_fma_f16 v25, v41, s7, v25
	;; [unrolled: 1-line block ×4, first 2 shown]
	v_add_f16_e32 v40, v38, v19
	v_add_f16_e32 v19, v19, v20
	;; [unrolled: 1-line block ×3, first 2 shown]
	v_fma_f16 v19, v19, -0.5, v38
	v_sub_f16_e32 v7, v7, v10
	v_mov_b32_e32 v20, 2
	v_add_f16_e32 v27, v42, v27
	v_fma_f16 v37, v5, s7, v26
	v_fma_f16 v5, v5, s6, v26
	v_add_f16_e32 v28, v28, v10
	v_fma_f16 v10, v7, s7, v19
	v_fma_f16 v7, v7, s6, v19
	v_mul_u32_u24_sdwa v19, v30, s2 dst_sel:DWORD dst_unused:UNUSED_PAD src0_sel:WORD_0 src1_sel:DWORD
	v_lshlrev_b32_sdwa v30, v20, v31 dst_sel:DWORD dst_unused:UNUSED_PAD src0_sel:DWORD src1_sel:BYTE_0
	v_fma_f16 v24, v44, -0.5, v24
	v_add3_u32 v19, 0, v19, v30
	v_pack_b32_f16 v8, v8, v27
	v_pack_b32_f16 v27, v36, v37
	;; [unrolled: 1-line block ×3, first 2 shown]
	v_add_f16_e32 v9, v43, v9
	v_add_f16_e32 v29, v46, v29
	v_fma_f16 v26, v45, s6, v24
	v_fma_f16 v24, v45, s7, v24
	ds_write2_b32 v19, v8, v27 offset1:39
	ds_write_b32 v19, v5 offset:312
	v_mul_u32_u24_sdwa v5, v32, s2 dst_sel:DWORD dst_unused:UNUSED_PAD src0_sel:WORD_0 src1_sel:DWORD
	v_lshlrev_b32_sdwa v8, v20, v33 dst_sel:DWORD dst_unused:UNUSED_PAD src0_sel:DWORD src1_sel:BYTE_0
	v_add3_u32 v5, 0, v5, v8
	v_pack_b32_f16 v8, v9, v29
	v_pack_b32_f16 v9, v26, v39
	;; [unrolled: 1-line block ×3, first 2 shown]
	ds_write2_b32 v5, v8, v9 offset1:39
	ds_write_b32 v5, v6 offset:312
	v_mul_u32_u24_e32 v5, 0x1d4, v34
	v_lshlrev_b32_e32 v6, 2, v35
	v_add3_u32 v5, 0, v5, v6
	v_pack_b32_f16 v6, v28, v40
	v_pack_b32_f16 v8, v41, v10
	ds_write2_b32 v5, v6, v8 offset1:39
	v_pack_b32_f16 v6, v23, v7
	ds_write_b32 v5, v6 offset:312
	s_and_saveexec_b64 s[2:3], s[0:1]
	s_cbranch_execz .LBB0_25
; %bb.24:
	v_add_u32_e32 v5, 0x15f, v18
	v_mul_u32_u24_sdwa v6, v5, s8 dst_sel:DWORD dst_unused:UNUSED_PAD src0_sel:WORD_0 src1_sel:DWORD
	v_sub_u16_sdwa v7, v5, v6 dst_sel:DWORD dst_unused:UNUSED_PAD src0_sel:DWORD src1_sel:WORD_1
	v_lshrrev_b16_e32 v7, 1, v7
	v_add_u16_sdwa v6, v7, v6 dst_sel:DWORD dst_unused:UNUSED_PAD src0_sel:DWORD src1_sel:WORD_1
	v_lshrrev_b16_e32 v7, 5, v6
	v_mul_lo_u16_e32 v6, 39, v7
	v_sub_u16_e32 v8, v5, v6
	v_lshlrev_b32_e32 v5, 3, v8
	global_load_dwordx2 v[5:6], v5, s[12:13] offset:144
	v_mul_lo_u16_e32 v7, 0x75, v7
	v_lshlrev_b32_e32 v7, 2, v7
	v_lshlrev_b32_e32 v8, 2, v8
	v_add3_u32 v7, 0, v8, v7
	s_waitcnt vmcnt(0)
	v_mul_f16_sdwa v8, v21, v5 dst_sel:DWORD dst_unused:UNUSED_PAD src0_sel:DWORD src1_sel:WORD_1
	v_mul_f16_sdwa v9, v13, v6 dst_sel:DWORD dst_unused:UNUSED_PAD src0_sel:DWORD src1_sel:WORD_1
	;; [unrolled: 1-line block ×4, first 2 shown]
	v_fma_f16 v8, v15, v5, -v8
	v_fma_f16 v9, v11, v6, -v9
	v_fma_f16 v5, v21, v5, v10
	v_fma_f16 v6, v13, v6, v19
	v_add_f16_e32 v11, v5, v6
	v_add_f16_e32 v15, v8, v9
	v_sub_f16_e32 v10, v8, v9
	v_add_f16_e32 v13, v16, v5
	v_sub_f16_e32 v5, v5, v6
	v_add_f16_e32 v8, v12, v8
	v_fma_f16 v11, v11, -0.5, v16
	v_fma_f16 v12, v15, -0.5, v12
	v_add_f16_e32 v6, v13, v6
	v_add_f16_e32 v8, v8, v9
	v_fma_f16 v9, v10, s6, v11
	v_fma_f16 v10, v10, s7, v11
	;; [unrolled: 1-line block ×4, first 2 shown]
	v_pack_b32_f16 v6, v8, v6
	v_pack_b32_f16 v5, v5, v10
	;; [unrolled: 1-line block ×3, first 2 shown]
	ds_write2_b32 v7, v6, v5 offset1:39
	ds_write_b32 v7, v8 offset:312
.LBB0_25:
	s_or_b64 exec, exec, s[2:3]
	s_waitcnt lgkmcnt(0)
	s_barrier
	s_and_saveexec_b64 s[0:1], vcc
	s_cbranch_execz .LBB0_27
; %bb.26:
	v_mul_u32_u24_e32 v5, 10, v18
	v_lshlrev_b32_e32 v13, 2, v5
	global_load_dwordx2 v[15:16], v13, s[12:13] offset:488
	global_load_dwordx4 v[5:8], v13, s[12:13] offset:456
	global_load_dwordx4 v[9:12], v13, s[12:13] offset:472
	v_mul_lo_u32 v24, s5, v3
	v_mul_lo_u32 v25, s4, v4
	v_mad_u64_u32 v[3:4], s[0:1], s4, v3, 0
	ds_read_b32 v26, v22
	ds_read_b32 v27, v14
	;; [unrolled: 1-line block ×3, first 2 shown]
	v_add_u32_e32 v13, 0x1000, v0
	v_add_u32_e32 v18, 0xc00, v0
	;; [unrolled: 1-line block ×4, first 2 shown]
	ds_read2_b32 v[13:14], v13 offset0:29 offset1:146
	ds_read2_b32 v[18:19], v18 offset0:51 offset1:168
	ds_read2_b32 v[20:21], v20 offset0:95 offset1:212
	ds_read2_b32 v[22:23], v0 offset0:73 offset1:190
	v_add3_u32 v4, v4, v25, v24
	s_movk_i32 s4, 0x3482
	s_mov_b32 s5, 0xb853
	s_movk_i32 s6, 0x3a0c
	s_mov_b32 s7, 0xbb47
	s_mov_b32 s0, 0xbbad
	s_movk_i32 s1, 0x3abb
	s_movk_i32 s8, 0x3b47
	s_mov_b32 s9, 0xbbeb
	s_mov_b32 s2, 0xb93d
	s_movk_i32 s3, 0x36a6
	v_lshlrev_b64 v[3:4], 2, v[3:4]
	v_add_co_u32_e32 v3, vcc, s10, v3
	s_waitcnt vmcnt(2)
	v_lshrrev_b32_e32 v24, 16, v16
	s_waitcnt lgkmcnt(3)
	v_mul_f16_sdwa v25, v16, v14 dst_sel:DWORD dst_unused:UNUSED_PAD src0_sel:DWORD src1_sel:WORD_1
	s_waitcnt vmcnt(1)
	v_lshrrev_b32_e32 v29, 16, v5
	v_mul_f16_sdwa v33, v5, v27 dst_sel:DWORD dst_unused:UNUSED_PAD src0_sel:DWORD src1_sel:WORD_1
	v_lshrrev_b32_e32 v0, 16, v15
	v_lshrrev_b32_e32 v30, 16, v6
	v_mul_f16_sdwa v34, v15, v13 dst_sel:DWORD dst_unused:UNUSED_PAD src0_sel:DWORD src1_sel:WORD_1
	v_mul_f16_sdwa v35, v6, v26 dst_sel:DWORD dst_unused:UNUSED_PAD src0_sel:DWORD src1_sel:WORD_1
	s_waitcnt vmcnt(0)
	v_lshrrev_b32_e32 v38, 16, v11
	v_lshrrev_b32_e32 v39, 16, v12
	s_waitcnt lgkmcnt(2)
	v_mul_f16_sdwa v40, v12, v19 dst_sel:DWORD dst_unused:UNUSED_PAD src0_sel:DWORD src1_sel:WORD_1
	v_mul_f16_sdwa v42, v11, v18 dst_sel:DWORD dst_unused:UNUSED_PAD src0_sel:DWORD src1_sel:WORD_1
	v_fma_f16 v25, v24, v14, v25
	v_fma_f16 v33, v29, v27, v33
	v_mul_f16_sdwa v29, v29, v27 dst_sel:DWORD dst_unused:UNUSED_PAD src0_sel:DWORD src1_sel:WORD_1
	v_mul_f16_sdwa v24, v24, v14 dst_sel:DWORD dst_unused:UNUSED_PAD src0_sel:DWORD src1_sel:WORD_1
	v_lshrrev_b32_e32 v31, 16, v7
	v_lshrrev_b32_e32 v32, 16, v8
	s_waitcnt lgkmcnt(1)
	v_mul_f16_sdwa v41, v7, v20 dst_sel:DWORD dst_unused:UNUSED_PAD src0_sel:DWORD src1_sel:WORD_1
	v_mul_f16_sdwa v43, v8, v21 dst_sel:DWORD dst_unused:UNUSED_PAD src0_sel:DWORD src1_sel:WORD_1
	v_fma_f16 v34, v0, v13, v34
	v_fma_f16 v35, v30, v26, v35
	v_mul_f16_sdwa v30, v30, v26 dst_sel:DWORD dst_unused:UNUSED_PAD src0_sel:DWORD src1_sel:WORD_1
	v_mul_f16_sdwa v0, v0, v13 dst_sel:DWORD dst_unused:UNUSED_PAD src0_sel:DWORD src1_sel:WORD_1
	v_fma_f16 v40, v39, v19, v40
	v_mul_f16_sdwa v39, v39, v19 dst_sel:DWORD dst_unused:UNUSED_PAD src0_sel:DWORD src1_sel:WORD_1
	v_fma_f16 v42, v38, v18, v42
	v_mul_f16_sdwa v38, v38, v18 dst_sel:DWORD dst_unused:UNUSED_PAD src0_sel:DWORD src1_sel:WORD_1
	v_add_f16_e32 v44, v25, v33
	v_fma_f16 v5, v5, v27, -v29
	v_fma_f16 v14, v14, v16, -v24
	v_fma_f16 v41, v31, v20, v41
	v_mul_f16_sdwa v31, v31, v20 dst_sel:DWORD dst_unused:UNUSED_PAD src0_sel:DWORD src1_sel:WORD_1
	v_fma_f16 v43, v32, v21, v43
	v_mul_f16_sdwa v32, v32, v21 dst_sel:DWORD dst_unused:UNUSED_PAD src0_sel:DWORD src1_sel:WORD_1
	v_add_f16_e32 v16, v34, v35
	v_fma_f16 v6, v6, v26, -v30
	v_fma_f16 v0, v13, v15, -v0
	;; [unrolled: 1-line block ×4, first 2 shown]
	v_mul_f16_e32 v18, 0xbbad, v44
	v_sub_f16_e32 v19, v5, v14
	v_add_f16_e32 v13, v40, v41
	v_fma_f16 v7, v7, v20, -v31
	v_fma_f16 v8, v8, v21, -v32
	v_mul_f16_e32 v20, 0x3abb, v16
	v_sub_f16_e32 v21, v6, v0
	v_fma_f16 v30, v19, s4, v18
	v_mul_f16_e32 v24, 0xb93d, v13
	v_sub_f16_e32 v26, v7, v12
	v_fma_f16 v31, v21, s5, v20
	v_add_f16_sdwa v30, v30, v28 dst_sel:DWORD dst_unused:UNUSED_PAD src0_sel:DWORD src1_sel:WORD_1
	v_fma_f16 v32, v26, s6, v24
	v_add_f16_e32 v30, v30, v31
	v_lshrrev_b32_e32 v36, 16, v9
	v_add_f16_e32 v15, v42, v43
	v_add_f16_e32 v30, v30, v32
	s_waitcnt lgkmcnt(0)
	v_mul_f16_sdwa v32, v9, v22 dst_sel:DWORD dst_unused:UNUSED_PAD src0_sel:DWORD src1_sel:WORD_1
	v_lshrrev_b32_e32 v37, 16, v10
	v_mul_f16_e32 v27, 0x36a6, v15
	v_sub_f16_e32 v29, v8, v11
	v_mul_f16_sdwa v31, v10, v23 dst_sel:DWORD dst_unused:UNUSED_PAD src0_sel:DWORD src1_sel:WORD_1
	v_fma_f16 v32, v36, v22, v32
	v_mul_f16_sdwa v36, v36, v22 dst_sel:DWORD dst_unused:UNUSED_PAD src0_sel:DWORD src1_sel:WORD_1
	v_fma_f16 v38, v29, s7, v27
	v_fma_f16 v31, v37, v23, v31
	v_fma_f16 v9, v9, v22, -v36
	v_mul_f16_sdwa v22, v37, v23 dst_sel:DWORD dst_unused:UNUSED_PAD src0_sel:DWORD src1_sel:WORD_1
	v_add_f16_e32 v30, v30, v38
	v_add_f16_e32 v38, v31, v32
	v_fma_f16 v10, v23, v10, -v22
	v_mul_f16_e32 v39, 0xb08e, v38
	v_sub_f16_e32 v22, v9, v10
	s_movk_i32 s5, 0x3beb
	v_fma_f16 v23, v22, s5, v39
	s_mov_b32 s5, 0xb482
	v_sub_f16_e32 v36, v33, v25
	s_movk_i32 s6, 0x3853
	v_fma_f16 v18, v19, s5, v18
	v_add_f16_e32 v23, v30, v23
	v_add_f16_e32 v30, v14, v5
	v_mul_f16_e32 v37, 0xb482, v36
	v_sub_f16_e32 v47, v35, v34
	s_mov_b32 s7, 0xba0c
	v_add_f16_sdwa v18, v18, v28 dst_sel:DWORD dst_unused:UNUSED_PAD src0_sel:DWORD src1_sel:WORD_1
	v_fma_f16 v20, v21, s6, v20
	v_fma_f16 v45, v30, s0, v37
	v_add_f16_e32 v46, v0, v6
	v_mul_f16_e32 v48, 0x3853, v47
	v_add_f16_e32 v18, v18, v20
	v_fma_f16 v20, v26, s7, v24
	v_add_f16_e32 v45, v45, v28
	v_fma_f16 v49, v46, s1, v48
	v_sub_f16_e32 v50, v41, v40
	v_add_f16_e32 v18, v18, v20
	v_fma_f16 v20, v29, s8, v27
	v_add_f16_e32 v45, v45, v49
	v_add_f16_e32 v49, v12, v7
	v_mul_f16_e32 v51, 0xba0c, v50
	v_add_f16_e32 v18, v18, v20
	v_fma_f16 v20, v22, s9, v39
	v_fma_f16 v52, v49, s2, v51
	v_sub_f16_e32 v53, v43, v42
	v_add_f16_e32 v18, v18, v20
	v_fma_f16 v20, v30, s0, -v37
	v_add_f16_e32 v45, v45, v52
	v_add_f16_e32 v52, v11, v8
	v_mul_f16_e32 v54, 0x3b47, v53
	v_add_f16_e32 v20, v20, v28
	v_fma_f16 v24, v46, s1, -v48
	v_fma_f16 v55, v52, s3, v54
	v_sub_f16_e32 v56, v32, v31
	v_add_f16_e32 v20, v20, v24
	v_fma_f16 v24, v49, s2, -v51
	s_mov_b32 s4, 0xb08e
	v_add_f16_e32 v45, v45, v55
	v_add_f16_e32 v55, v10, v9
	v_mul_f16_e32 v57, 0xbbeb, v56
	v_add_f16_e32 v20, v20, v24
	v_fma_f16 v24, v52, s3, -v54
	v_add_f16_e32 v20, v20, v24
	v_fma_f16 v24, v55, s4, -v57
	v_add_f16_e32 v20, v20, v24
	v_mul_f16_e32 v24, 0xba0c, v19
	v_fma_f16 v27, v44, s2, v24
	v_mul_f16_e32 v37, 0x3beb, v21
	v_add_f16_sdwa v27, v27, v28 dst_sel:DWORD dst_unused:UNUSED_PAD src0_sel:DWORD src1_sel:WORD_1
	v_fma_f16 v39, v16, s4, v37
	v_add_f16_e32 v27, v27, v39
	v_mul_f16_e32 v39, 0xb853, v26
	v_fma_f16 v48, v13, s1, v39
	v_add_f16_e32 v27, v27, v48
	v_mul_f16_e32 v48, 0xb482, v29
	v_fma_f16 v51, v15, s0, v48
	v_add_f16_e32 v5, v5, v28
	v_add_f16_e32 v27, v27, v51
	v_mul_f16_e32 v51, 0x3b47, v22
	v_add_f16_e32 v5, v5, v6
	v_fma_f16 v54, v38, s3, v51
	v_add_f16_e32 v5, v5, v7
	v_fma_f16 v58, v55, s4, v57
	v_add_f16_e32 v27, v27, v54
	v_mul_f16_e32 v54, 0xba0c, v36
	v_add_f16_e32 v5, v5, v8
	v_add_f16_e32 v45, v45, v58
	v_fma_f16 v57, v30, s2, -v54
	v_mul_f16_e32 v58, 0x3beb, v47
	v_add_f16_e32 v5, v5, v9
	v_add_f16_e32 v57, v57, v28
	v_fma_f16 v59, v46, s4, -v58
	v_add_f16_e32 v5, v10, v5
	v_add_f16_e32 v57, v57, v59
	v_mul_f16_e32 v59, 0xb853, v50
	v_add_f16_e32 v5, v11, v5
	v_fma_f16 v60, v49, s1, -v59
	v_add_f16_e32 v5, v12, v5
	v_add_f16_e32 v57, v57, v60
	v_mul_f16_e32 v60, 0xb482, v53
	v_add_f16_e32 v0, v0, v5
	v_fma_f16 v61, v52, s0, -v60
	v_add_f16_e32 v8, v14, v0
	v_add_f16_sdwa v0, v33, v28 dst_sel:DWORD dst_unused:UNUSED_PAD src0_sel:DWORD src1_sel:WORD_1
	v_add_f16_e32 v57, v57, v61
	v_mul_f16_e32 v61, 0x3b47, v56
	v_add_f16_e32 v0, v0, v35
	v_fma_f16 v62, v55, s3, -v61
	v_add_f16_e32 v0, v0, v41
	v_add_f16_e32 v57, v57, v62
	v_mul_f16_e32 v62, 0xbbeb, v19
	v_add_f16_e32 v0, v0, v43
	v_fma_f16 v63, v44, s4, v62
	v_mul_f16_e32 v64, 0x3482, v21
	v_add_f16_e32 v0, v0, v32
	v_add_f16_sdwa v63, v63, v28 dst_sel:DWORD dst_unused:UNUSED_PAD src0_sel:DWORD src1_sel:WORD_1
	v_fma_f16 v65, v16, s0, v64
	v_add_f16_e32 v0, v31, v0
	v_add_f16_e32 v63, v63, v65
	v_mul_f16_e32 v65, 0x3b47, v26
	v_add_f16_e32 v0, v42, v0
	v_fma_f16 v66, v13, s3, v65
	v_add_f16_e32 v0, v40, v0
	v_add_f16_e32 v63, v63, v66
	v_mul_f16_e32 v66, 0xb853, v29
	v_add_f16_e32 v0, v34, v0
	v_fma_f16 v67, v15, s1, v66
	v_add_f16_e32 v9, v25, v0
	v_fma_f16 v0, v44, s2, -v24
	v_add_f16_e32 v63, v63, v67
	v_mul_f16_e32 v67, 0xba0c, v22
	v_add_f16_sdwa v0, v0, v28 dst_sel:DWORD dst_unused:UNUSED_PAD src0_sel:DWORD src1_sel:WORD_1
	v_fma_f16 v5, v16, s4, -v37
	v_fma_f16 v68, v38, s2, v67
	v_add_f16_e32 v0, v0, v5
	v_fma_f16 v5, v13, s1, -v39
	v_add_f16_e32 v63, v63, v68
	v_mul_f16_e32 v68, 0xbbeb, v36
	v_add_f16_e32 v0, v0, v5
	v_fma_f16 v5, v15, s0, -v48
	v_fma_f16 v69, v30, s4, -v68
	v_mul_f16_e32 v70, 0x3482, v47
	v_add_f16_e32 v0, v0, v5
	v_fma_f16 v5, v38, s3, -v51
	v_add_f16_e32 v69, v69, v28
	v_fma_f16 v71, v46, s0, -v70
	v_add_f16_e32 v10, v0, v5
	v_fma_f16 v0, v30, s2, v54
	v_add_f16_e32 v69, v69, v71
	v_mul_f16_e32 v71, 0x3b47, v50
	v_add_f16_e32 v0, v0, v28
	v_fma_f16 v5, v46, s4, v58
	v_fma_f16 v72, v49, s3, -v71
	v_add_f16_e32 v0, v0, v5
	v_fma_f16 v5, v49, s1, v59
	v_add_f16_e32 v69, v69, v72
	v_mul_f16_e32 v72, 0xb853, v53
	v_add_f16_e32 v0, v0, v5
	v_fma_f16 v5, v52, s0, v60
	v_fma_f16 v73, v52, s1, -v72
	v_add_f16_e32 v0, v0, v5
	v_fma_f16 v5, v55, s3, v61
	v_add_f16_e32 v69, v69, v73
	v_mul_f16_e32 v73, 0xba0c, v56
	v_add_f16_e32 v11, v0, v5
	v_fma_f16 v0, v44, s4, -v62
	v_fma_f16 v74, v55, s2, -v73
	v_add_f16_sdwa v0, v0, v28 dst_sel:DWORD dst_unused:UNUSED_PAD src0_sel:DWORD src1_sel:WORD_1
	v_fma_f16 v5, v16, s0, -v64
	v_add_f16_e32 v69, v69, v74
	v_mul_f16_e32 v74, 0xbb47, v19
	v_add_f16_e32 v0, v0, v5
	v_fma_f16 v5, v13, s3, -v65
	v_fma_f16 v75, v44, s3, v74
	v_mul_f16_e32 v76, 0xba0c, v21
	v_add_f16_e32 v0, v0, v5
	v_fma_f16 v5, v15, s1, -v66
	v_add_f16_sdwa v75, v75, v28 dst_sel:DWORD dst_unused:UNUSED_PAD src0_sel:DWORD src1_sel:WORD_1
	v_fma_f16 v77, v16, s2, v76
	v_add_f16_e32 v0, v0, v5
	v_fma_f16 v5, v38, s2, -v67
	v_add_f16_e32 v75, v75, v77
	v_mul_f16_e32 v77, 0x3482, v26
	v_add_f16_e32 v12, v0, v5
	v_fma_f16 v0, v30, s4, v68
	v_fma_f16 v78, v13, s0, v77
	v_add_f16_e32 v0, v0, v28
	v_fma_f16 v5, v46, s0, v70
	v_add_f16_e32 v75, v75, v78
	v_mul_f16_e32 v78, 0x3beb, v29
	v_add_f16_e32 v0, v0, v5
	v_fma_f16 v5, v49, s3, v71
	v_fma_f16 v79, v15, s4, v78
	v_add_f16_e32 v0, v0, v5
	v_fma_f16 v5, v52, s1, v72
	v_add_f16_e32 v75, v75, v79
	v_mul_f16_e32 v79, 0x3853, v22
	v_add_f16_e32 v0, v0, v5
	v_fma_f16 v5, v55, s2, v73
	v_fma_f16 v80, v38, s1, v79
	v_add_f16_e32 v14, v0, v5
	v_fma_f16 v0, v44, s3, -v74
	v_add_f16_e32 v75, v75, v80
	v_mul_f16_e32 v80, 0xbb47, v36
	v_add_f16_sdwa v0, v0, v28 dst_sel:DWORD dst_unused:UNUSED_PAD src0_sel:DWORD src1_sel:WORD_1
	v_fma_f16 v5, v16, s2, -v76
	v_fma_f16 v81, v30, s3, -v80
	v_mul_f16_e32 v82, 0xba0c, v47
	v_add_f16_e32 v0, v0, v5
	v_fma_f16 v5, v13, s0, -v77
	v_add_f16_e32 v81, v81, v28
	v_fma_f16 v83, v46, s2, -v82
	;; [unrolled: 2-line block ×3, first 2 shown]
	v_add_f16_e32 v81, v81, v83
	v_mul_f16_e32 v83, 0x3482, v50
	v_add_f16_e32 v0, v0, v5
	v_fma_f16 v5, v38, s1, -v79
	v_fma_f16 v84, v49, s0, -v83
	v_add_f16_e32 v24, v0, v5
	v_fma_f16 v0, v30, s3, v80
	v_add_f16_e32 v81, v81, v84
	v_mul_f16_e32 v84, 0x3beb, v53
	v_add_f16_e32 v0, v0, v28
	v_fma_f16 v5, v46, s2, v82
	v_fma_f16 v85, v52, s4, -v84
	v_add_f16_e32 v0, v0, v5
	v_fma_f16 v5, v49, s0, v83
	v_add_f16_e32 v81, v81, v85
	v_mul_f16_e32 v85, 0x3853, v56
	v_add_f16_e32 v0, v0, v5
	v_fma_f16 v5, v52, s4, v84
	v_mul_f16_e32 v19, 0xb853, v19
	v_add_f16_e32 v0, v0, v5
	v_fma_f16 v5, v55, s1, v85
	v_mul_f16_e32 v21, 0xbb47, v21
	v_add_f16_e32 v25, v0, v5
	v_fma_f16 v0, v44, s1, -v19
	v_mul_f16_e32 v26, 0xbbeb, v26
	v_add_f16_sdwa v0, v0, v28 dst_sel:DWORD dst_unused:UNUSED_PAD src0_sel:DWORD src1_sel:WORD_1
	v_fma_f16 v5, v16, s3, -v21
	v_fma_f16 v86, v55, s1, -v85
	v_mul_f16_e32 v29, 0xba0c, v29
	v_add_f16_e32 v0, v0, v5
	v_fma_f16 v5, v13, s4, -v26
	v_add_f16_e32 v81, v81, v86
	v_fma_f16 v86, v44, s1, v19
	v_mul_f16_e32 v22, 0xb482, v22
	v_add_f16_e32 v0, v0, v5
	v_fma_f16 v5, v15, s2, -v29
	v_add_f16_sdwa v86, v86, v28 dst_sel:DWORD dst_unused:UNUSED_PAD src0_sel:DWORD src1_sel:WORD_1
	v_fma_f16 v87, v16, s3, v21
	v_mul_f16_e32 v36, 0xb853, v36
	v_add_f16_e32 v0, v0, v5
	v_fma_f16 v5, v38, s0, -v22
	v_add_f16_e32 v86, v86, v87
	v_fma_f16 v87, v13, s4, v26
	v_mul_f16_e32 v47, 0xbb47, v47
	v_add_f16_e32 v13, v0, v5
	v_fma_f16 v0, v30, s1, v36
	v_add_f16_e32 v0, v0, v28
	v_fma_f16 v5, v46, s3, v47
	v_add_f16_e32 v86, v86, v87
	v_fma_f16 v87, v15, s2, v29
	v_add_f16_e32 v0, v0, v5
	v_mad_u64_u32 v[5:6], s[6:7], s20, v17, 0
	v_add_f16_e32 v86, v86, v87
	v_fma_f16 v87, v38, s0, v22
	v_add_f16_e32 v86, v86, v87
	v_fma_f16 v87, v30, s1, -v36
	v_mul_f16_e32 v50, 0xbbeb, v50
	v_add_f16_e32 v87, v87, v28
	v_fma_f16 v88, v46, s3, -v47
	v_fma_f16 v7, v49, s4, v50
	v_add_f16_e32 v87, v87, v88
	v_fma_f16 v88, v49, s4, -v50
	v_mul_f16_e32 v53, 0xba0c, v53
	v_add_f16_e32 v15, v0, v7
	v_mov_b32_e32 v0, v6
	v_add_f16_e32 v87, v87, v88
	v_fma_f16 v88, v52, s2, -v53
	v_mul_f16_e32 v56, 0xb482, v56
	v_fma_f16 v16, v52, s2, v53
	v_mad_u64_u32 v[6:7], s[2:3], s21, v17, v[0:1]
	v_add_f16_e32 v0, v15, v16
	v_fma_f16 v7, v55, s0, v56
	v_add_f16_e32 v7, v0, v7
	v_mov_b32_e32 v0, s11
	v_addc_co_u32_e32 v4, vcc, v0, v4, vcc
	v_lshlrev_b64 v[0:1], 2, v[1:2]
	v_add_f16_e32 v87, v87, v88
	v_add_co_u32_e32 v15, vcc, v3, v0
	v_addc_co_u32_e32 v16, vcc, v4, v1, vcc
	v_add_u32_e32 v4, 0x75, v17
	v_fma_f16 v88, v55, s0, -v56
	v_mad_u64_u32 v[2:3], s[0:1], s20, v4, 0
	v_lshlrev_b64 v[0:1], 2, v[5:6]
	v_pack_b32_f16 v6, v8, v9
	v_mad_u64_u32 v[3:4], s[0:1], s21, v4, v[3:4]
	v_add_u32_e32 v8, 0xea, v17
	v_mad_u64_u32 v[4:5], s[0:1], s20, v8, 0
	v_add_co_u32_e32 v0, vcc, v15, v0
	v_addc_co_u32_e32 v1, vcc, v16, v1, vcc
	global_store_dword v[0:1], v6, off
	v_lshlrev_b64 v[0:1], 2, v[2:3]
	v_mov_b32_e32 v2, v5
	v_mad_u64_u32 v[2:3], s[0:1], s21, v8, v[2:3]
	v_add_f16_e32 v87, v87, v88
	v_add_co_u32_e32 v0, vcc, v15, v0
	v_addc_co_u32_e32 v1, vcc, v16, v1, vcc
	v_pack_b32_f16 v3, v87, v86
	v_mov_b32_e32 v5, v2
	global_store_dword v[0:1], v3, off
	v_lshlrev_b64 v[0:1], 2, v[4:5]
	v_add_u32_e32 v4, 0x15f, v17
	v_mad_u64_u32 v[2:3], s[0:1], s20, v4, 0
	v_add_u32_e32 v8, 0x1d4, v17
	v_add_co_u32_e32 v0, vcc, v15, v0
	v_mad_u64_u32 v[3:4], s[0:1], s21, v4, v[3:4]
	v_mad_u64_u32 v[4:5], s[0:1], s20, v8, 0
	v_addc_co_u32_e32 v1, vcc, v16, v1, vcc
	v_pack_b32_f16 v6, v81, v75
	global_store_dword v[0:1], v6, off
	v_lshlrev_b64 v[0:1], 2, v[2:3]
	v_mov_b32_e32 v2, v5
	v_mad_u64_u32 v[2:3], s[0:1], s21, v8, v[2:3]
	v_add_co_u32_e32 v0, vcc, v15, v0
	v_addc_co_u32_e32 v1, vcc, v16, v1, vcc
	v_pack_b32_f16 v3, v69, v63
	v_mov_b32_e32 v5, v2
	global_store_dword v[0:1], v3, off
	v_lshlrev_b64 v[0:1], 2, v[4:5]
	v_add_u32_e32 v4, 0x249, v17
	v_mad_u64_u32 v[2:3], s[0:1], s20, v4, 0
	v_add_u32_e32 v8, 0x2be, v17
	v_add_co_u32_e32 v0, vcc, v15, v0
	v_mad_u64_u32 v[3:4], s[0:1], s21, v4, v[3:4]
	v_mad_u64_u32 v[4:5], s[0:1], s20, v8, 0
	v_addc_co_u32_e32 v1, vcc, v16, v1, vcc
	v_pack_b32_f16 v6, v57, v27
	global_store_dword v[0:1], v6, off
	v_lshlrev_b64 v[0:1], 2, v[2:3]
	v_mov_b32_e32 v2, v5
	v_mad_u64_u32 v[2:3], s[0:1], s21, v8, v[2:3]
	;; [unrolled: 18-line block ×4, first 2 shown]
	v_add_co_u32_e32 v0, vcc, v15, v0
	v_addc_co_u32_e32 v1, vcc, v16, v1, vcc
	v_pack_b32_f16 v3, v25, v24
	v_mov_b32_e32 v5, v2
	global_store_dword v[0:1], v3, off
	v_lshlrev_b64 v[0:1], 2, v[4:5]
	v_pack_b32_f16 v2, v7, v13
	v_add_co_u32_e32 v0, vcc, v15, v0
	v_addc_co_u32_e32 v1, vcc, v16, v1, vcc
	global_store_dword v[0:1], v2, off
.LBB0_27:
	s_endpgm
	.section	.rodata,"a",@progbits
	.p2align	6, 0x0
	.amdhsa_kernel fft_rtc_fwd_len1287_factors_3_13_3_11_wgs_117_tpt_117_half_op_CI_CI_sbrr_dirReg
		.amdhsa_group_segment_fixed_size 0
		.amdhsa_private_segment_fixed_size 0
		.amdhsa_kernarg_size 104
		.amdhsa_user_sgpr_count 6
		.amdhsa_user_sgpr_private_segment_buffer 1
		.amdhsa_user_sgpr_dispatch_ptr 0
		.amdhsa_user_sgpr_queue_ptr 0
		.amdhsa_user_sgpr_kernarg_segment_ptr 1
		.amdhsa_user_sgpr_dispatch_id 0
		.amdhsa_user_sgpr_flat_scratch_init 0
		.amdhsa_user_sgpr_private_segment_size 0
		.amdhsa_uses_dynamic_stack 0
		.amdhsa_system_sgpr_private_segment_wavefront_offset 0
		.amdhsa_system_sgpr_workgroup_id_x 1
		.amdhsa_system_sgpr_workgroup_id_y 0
		.amdhsa_system_sgpr_workgroup_id_z 0
		.amdhsa_system_sgpr_workgroup_info 0
		.amdhsa_system_vgpr_workitem_id 0
		.amdhsa_next_free_vgpr 130
		.amdhsa_next_free_sgpr 32
		.amdhsa_reserve_vcc 1
		.amdhsa_reserve_flat_scratch 0
		.amdhsa_float_round_mode_32 0
		.amdhsa_float_round_mode_16_64 0
		.amdhsa_float_denorm_mode_32 3
		.amdhsa_float_denorm_mode_16_64 3
		.amdhsa_dx10_clamp 1
		.amdhsa_ieee_mode 1
		.amdhsa_fp16_overflow 0
		.amdhsa_exception_fp_ieee_invalid_op 0
		.amdhsa_exception_fp_denorm_src 0
		.amdhsa_exception_fp_ieee_div_zero 0
		.amdhsa_exception_fp_ieee_overflow 0
		.amdhsa_exception_fp_ieee_underflow 0
		.amdhsa_exception_fp_ieee_inexact 0
		.amdhsa_exception_int_div_zero 0
	.end_amdhsa_kernel
	.text
.Lfunc_end0:
	.size	fft_rtc_fwd_len1287_factors_3_13_3_11_wgs_117_tpt_117_half_op_CI_CI_sbrr_dirReg, .Lfunc_end0-fft_rtc_fwd_len1287_factors_3_13_3_11_wgs_117_tpt_117_half_op_CI_CI_sbrr_dirReg
                                        ; -- End function
	.section	.AMDGPU.csdata,"",@progbits
; Kernel info:
; codeLenInByte = 10748
; NumSgprs: 36
; NumVgprs: 130
; ScratchSize: 0
; MemoryBound: 0
; FloatMode: 240
; IeeeMode: 1
; LDSByteSize: 0 bytes/workgroup (compile time only)
; SGPRBlocks: 4
; VGPRBlocks: 32
; NumSGPRsForWavesPerEU: 36
; NumVGPRsForWavesPerEU: 130
; Occupancy: 1
; WaveLimiterHint : 1
; COMPUTE_PGM_RSRC2:SCRATCH_EN: 0
; COMPUTE_PGM_RSRC2:USER_SGPR: 6
; COMPUTE_PGM_RSRC2:TRAP_HANDLER: 0
; COMPUTE_PGM_RSRC2:TGID_X_EN: 1
; COMPUTE_PGM_RSRC2:TGID_Y_EN: 0
; COMPUTE_PGM_RSRC2:TGID_Z_EN: 0
; COMPUTE_PGM_RSRC2:TIDIG_COMP_CNT: 0
	.type	__hip_cuid_b0c4b157b1808f4c,@object ; @__hip_cuid_b0c4b157b1808f4c
	.section	.bss,"aw",@nobits
	.globl	__hip_cuid_b0c4b157b1808f4c
__hip_cuid_b0c4b157b1808f4c:
	.byte	0                               ; 0x0
	.size	__hip_cuid_b0c4b157b1808f4c, 1

	.ident	"AMD clang version 19.0.0git (https://github.com/RadeonOpenCompute/llvm-project roc-6.4.0 25133 c7fe45cf4b819c5991fe208aaa96edf142730f1d)"
	.section	".note.GNU-stack","",@progbits
	.addrsig
	.addrsig_sym __hip_cuid_b0c4b157b1808f4c
	.amdgpu_metadata
---
amdhsa.kernels:
  - .args:
      - .actual_access:  read_only
        .address_space:  global
        .offset:         0
        .size:           8
        .value_kind:     global_buffer
      - .offset:         8
        .size:           8
        .value_kind:     by_value
      - .actual_access:  read_only
        .address_space:  global
        .offset:         16
        .size:           8
        .value_kind:     global_buffer
      - .actual_access:  read_only
        .address_space:  global
        .offset:         24
        .size:           8
        .value_kind:     global_buffer
      - .actual_access:  read_only
        .address_space:  global
        .offset:         32
        .size:           8
        .value_kind:     global_buffer
      - .offset:         40
        .size:           8
        .value_kind:     by_value
      - .actual_access:  read_only
        .address_space:  global
        .offset:         48
        .size:           8
        .value_kind:     global_buffer
      - .actual_access:  read_only
        .address_space:  global
        .offset:         56
        .size:           8
        .value_kind:     global_buffer
      - .offset:         64
        .size:           4
        .value_kind:     by_value
      - .actual_access:  read_only
        .address_space:  global
        .offset:         72
        .size:           8
        .value_kind:     global_buffer
      - .actual_access:  read_only
        .address_space:  global
        .offset:         80
        .size:           8
        .value_kind:     global_buffer
      - .actual_access:  read_only
        .address_space:  global
        .offset:         88
        .size:           8
        .value_kind:     global_buffer
      - .actual_access:  write_only
        .address_space:  global
        .offset:         96
        .size:           8
        .value_kind:     global_buffer
    .group_segment_fixed_size: 0
    .kernarg_segment_align: 8
    .kernarg_segment_size: 104
    .language:       OpenCL C
    .language_version:
      - 2
      - 0
    .max_flat_workgroup_size: 117
    .name:           fft_rtc_fwd_len1287_factors_3_13_3_11_wgs_117_tpt_117_half_op_CI_CI_sbrr_dirReg
    .private_segment_fixed_size: 0
    .sgpr_count:     36
    .sgpr_spill_count: 0
    .symbol:         fft_rtc_fwd_len1287_factors_3_13_3_11_wgs_117_tpt_117_half_op_CI_CI_sbrr_dirReg.kd
    .uniform_work_group_size: 1
    .uses_dynamic_stack: false
    .vgpr_count:     130
    .vgpr_spill_count: 0
    .wavefront_size: 64
amdhsa.target:   amdgcn-amd-amdhsa--gfx906
amdhsa.version:
  - 1
  - 2
...

	.end_amdgpu_metadata
